;; amdgpu-corpus repo=ROCm/rocFFT kind=compiled arch=gfx906 opt=O3
	.text
	.amdgcn_target "amdgcn-amd-amdhsa--gfx906"
	.amdhsa_code_object_version 6
	.protected	fft_rtc_back_len1200_factors_5_5_16_3_wgs_225_tpt_75_halfLds_sp_op_CI_CI_sbrr_dirReg ; -- Begin function fft_rtc_back_len1200_factors_5_5_16_3_wgs_225_tpt_75_halfLds_sp_op_CI_CI_sbrr_dirReg
	.globl	fft_rtc_back_len1200_factors_5_5_16_3_wgs_225_tpt_75_halfLds_sp_op_CI_CI_sbrr_dirReg
	.p2align	8
	.type	fft_rtc_back_len1200_factors_5_5_16_3_wgs_225_tpt_75_halfLds_sp_op_CI_CI_sbrr_dirReg,@function
fft_rtc_back_len1200_factors_5_5_16_3_wgs_225_tpt_75_halfLds_sp_op_CI_CI_sbrr_dirReg: ; @fft_rtc_back_len1200_factors_5_5_16_3_wgs_225_tpt_75_halfLds_sp_op_CI_CI_sbrr_dirReg
; %bb.0:
	s_load_dwordx4 s[16:19], s[4:5], 0x18
	s_load_dwordx4 s[8:11], s[4:5], 0x0
	;; [unrolled: 1-line block ×3, first 2 shown]
	v_mul_u32_u24_e32 v1, 0x36a, v0
	v_lshrrev_b32_e32 v1, 16, v1
	s_waitcnt lgkmcnt(0)
	s_load_dwordx2 s[20:21], s[16:17], 0x0
	s_load_dwordx2 s[2:3], s[18:19], 0x0
	v_mad_u64_u32 v[2:3], s[0:1], s6, 3, v[1:2]
	v_mov_b32_e32 v10, 0
	v_mov_b32_e32 v3, v10
	v_cmp_lt_u64_e64 s[0:1], s[10:11], 2
	v_mov_b32_e32 v8, 0
	v_mov_b32_e32 v9, 0
	;; [unrolled: 1-line block ×4, first 2 shown]
	s_and_b64 vcc, exec, s[0:1]
	v_mov_b32_e32 v5, v9
	v_mov_b32_e32 v6, v2
	s_cbranch_vccnz .LBB0_8
; %bb.1:
	s_load_dwordx2 s[0:1], s[4:5], 0x10
	s_add_u32 s6, s18, 8
	s_addc_u32 s7, s19, 0
	s_add_u32 s22, s16, 8
	s_addc_u32 s23, s17, 0
	v_mov_b32_e32 v8, 0
	s_waitcnt lgkmcnt(0)
	s_add_u32 s24, s0, 8
	v_mov_b32_e32 v9, 0
	v_mov_b32_e32 v4, v8
	;; [unrolled: 1-line block ×3, first 2 shown]
	s_addc_u32 s25, s1, 0
	s_mov_b64 s[26:27], 1
	v_mov_b32_e32 v5, v9
	v_mov_b32_e32 v12, v2
.LBB0_2:                                ; =>This Inner Loop Header: Depth=1
	s_load_dwordx2 s[28:29], s[24:25], 0x0
                                        ; implicit-def: $vgpr6_vgpr7
	s_waitcnt lgkmcnt(0)
	v_or_b32_e32 v11, s29, v13
	v_cmp_ne_u64_e32 vcc, 0, v[10:11]
	s_and_saveexec_b64 s[0:1], vcc
	s_xor_b64 s[30:31], exec, s[0:1]
	s_cbranch_execz .LBB0_4
; %bb.3:                                ;   in Loop: Header=BB0_2 Depth=1
	v_cvt_f32_u32_e32 v1, s28
	v_cvt_f32_u32_e32 v3, s29
	s_sub_u32 s0, 0, s28
	s_subb_u32 s1, 0, s29
	v_mac_f32_e32 v1, 0x4f800000, v3
	v_rcp_f32_e32 v1, v1
	v_mul_f32_e32 v1, 0x5f7ffffc, v1
	v_mul_f32_e32 v3, 0x2f800000, v1
	v_trunc_f32_e32 v3, v3
	v_mac_f32_e32 v1, 0xcf800000, v3
	v_cvt_u32_f32_e32 v3, v3
	v_cvt_u32_f32_e32 v1, v1
	v_mul_lo_u32 v6, s0, v3
	v_mul_hi_u32 v7, s0, v1
	v_mul_lo_u32 v14, s1, v1
	v_mul_lo_u32 v11, s0, v1
	v_add_u32_e32 v6, v7, v6
	v_add_u32_e32 v6, v6, v14
	v_mul_hi_u32 v7, v1, v11
	v_mul_lo_u32 v14, v1, v6
	v_mul_hi_u32 v16, v1, v6
	v_mul_hi_u32 v15, v3, v11
	v_mul_lo_u32 v11, v3, v11
	v_mul_hi_u32 v17, v3, v6
	v_add_co_u32_e32 v7, vcc, v7, v14
	v_addc_co_u32_e32 v14, vcc, 0, v16, vcc
	v_mul_lo_u32 v6, v3, v6
	v_add_co_u32_e32 v7, vcc, v7, v11
	v_addc_co_u32_e32 v7, vcc, v14, v15, vcc
	v_addc_co_u32_e32 v11, vcc, 0, v17, vcc
	v_add_co_u32_e32 v6, vcc, v7, v6
	v_addc_co_u32_e32 v7, vcc, 0, v11, vcc
	v_add_co_u32_e32 v1, vcc, v1, v6
	v_addc_co_u32_e32 v3, vcc, v3, v7, vcc
	v_mul_lo_u32 v6, s0, v3
	v_mul_hi_u32 v7, s0, v1
	v_mul_lo_u32 v11, s1, v1
	v_mul_lo_u32 v14, s0, v1
	v_add_u32_e32 v6, v7, v6
	v_add_u32_e32 v6, v6, v11
	v_mul_lo_u32 v15, v1, v6
	v_mul_hi_u32 v16, v1, v14
	v_mul_hi_u32 v17, v1, v6
	;; [unrolled: 1-line block ×3, first 2 shown]
	v_mul_lo_u32 v14, v3, v14
	v_mul_hi_u32 v7, v3, v6
	v_add_co_u32_e32 v15, vcc, v16, v15
	v_addc_co_u32_e32 v16, vcc, 0, v17, vcc
	v_mul_lo_u32 v6, v3, v6
	v_add_co_u32_e32 v14, vcc, v15, v14
	v_addc_co_u32_e32 v11, vcc, v16, v11, vcc
	v_addc_co_u32_e32 v7, vcc, 0, v7, vcc
	v_add_co_u32_e32 v6, vcc, v11, v6
	v_addc_co_u32_e32 v7, vcc, 0, v7, vcc
	v_add_co_u32_e32 v1, vcc, v1, v6
	v_addc_co_u32_e32 v3, vcc, v3, v7, vcc
	v_mad_u64_u32 v[6:7], s[0:1], v12, v3, 0
	v_mul_hi_u32 v11, v12, v1
	v_mad_u64_u32 v[14:15], s[0:1], v13, v3, 0
	v_add_co_u32_e32 v11, vcc, v11, v6
	v_addc_co_u32_e32 v16, vcc, 0, v7, vcc
	v_mad_u64_u32 v[6:7], s[0:1], v13, v1, 0
	v_add_co_u32_e32 v1, vcc, v11, v6
	v_addc_co_u32_e32 v1, vcc, v16, v7, vcc
	v_addc_co_u32_e32 v3, vcc, 0, v15, vcc
	v_add_co_u32_e32 v1, vcc, v1, v14
	v_addc_co_u32_e32 v3, vcc, 0, v3, vcc
	v_mul_lo_u32 v11, s29, v1
	v_mul_lo_u32 v14, s28, v3
	v_mad_u64_u32 v[6:7], s[0:1], s28, v1, 0
	v_add3_u32 v7, v7, v14, v11
	v_sub_u32_e32 v11, v13, v7
	v_mov_b32_e32 v14, s29
	v_sub_co_u32_e32 v6, vcc, v12, v6
	v_subb_co_u32_e64 v11, s[0:1], v11, v14, vcc
	v_subrev_co_u32_e64 v14, s[0:1], s28, v6
	v_subbrev_co_u32_e64 v11, s[0:1], 0, v11, s[0:1]
	v_cmp_le_u32_e64 s[0:1], s29, v11
	v_cndmask_b32_e64 v15, 0, -1, s[0:1]
	v_cmp_le_u32_e64 s[0:1], s28, v14
	v_cndmask_b32_e64 v14, 0, -1, s[0:1]
	v_cmp_eq_u32_e64 s[0:1], s29, v11
	v_cndmask_b32_e64 v11, v15, v14, s[0:1]
	v_add_co_u32_e64 v14, s[0:1], 2, v1
	v_addc_co_u32_e64 v15, s[0:1], 0, v3, s[0:1]
	v_add_co_u32_e64 v16, s[0:1], 1, v1
	v_addc_co_u32_e64 v17, s[0:1], 0, v3, s[0:1]
	v_subb_co_u32_e32 v7, vcc, v13, v7, vcc
	v_cmp_ne_u32_e64 s[0:1], 0, v11
	v_cmp_le_u32_e32 vcc, s29, v7
	v_cndmask_b32_e64 v11, v17, v15, s[0:1]
	v_cndmask_b32_e64 v15, 0, -1, vcc
	v_cmp_le_u32_e32 vcc, s28, v6
	v_cndmask_b32_e64 v6, 0, -1, vcc
	v_cmp_eq_u32_e32 vcc, s29, v7
	v_cndmask_b32_e32 v6, v15, v6, vcc
	v_cmp_ne_u32_e32 vcc, 0, v6
	v_cndmask_b32_e32 v7, v3, v11, vcc
	v_cndmask_b32_e64 v3, v16, v14, s[0:1]
	v_cndmask_b32_e32 v6, v1, v3, vcc
.LBB0_4:                                ;   in Loop: Header=BB0_2 Depth=1
	s_andn2_saveexec_b64 s[0:1], s[30:31]
	s_cbranch_execz .LBB0_6
; %bb.5:                                ;   in Loop: Header=BB0_2 Depth=1
	v_cvt_f32_u32_e32 v1, s28
	s_sub_i32 s30, 0, s28
	v_rcp_iflag_f32_e32 v1, v1
	v_mul_f32_e32 v1, 0x4f7ffffe, v1
	v_cvt_u32_f32_e32 v1, v1
	v_mul_lo_u32 v3, s30, v1
	v_mul_hi_u32 v3, v1, v3
	v_add_u32_e32 v1, v1, v3
	v_mul_hi_u32 v1, v12, v1
	v_mul_lo_u32 v3, v1, s28
	v_add_u32_e32 v6, 1, v1
	v_sub_u32_e32 v3, v12, v3
	v_subrev_u32_e32 v7, s28, v3
	v_cmp_le_u32_e32 vcc, s28, v3
	v_cndmask_b32_e32 v3, v3, v7, vcc
	v_cndmask_b32_e32 v1, v1, v6, vcc
	v_add_u32_e32 v6, 1, v1
	v_cmp_le_u32_e32 vcc, s28, v3
	v_cndmask_b32_e32 v6, v1, v6, vcc
	v_mov_b32_e32 v7, v10
.LBB0_6:                                ;   in Loop: Header=BB0_2 Depth=1
	s_or_b64 exec, exec, s[0:1]
	v_mul_lo_u32 v1, v7, s28
	v_mul_lo_u32 v3, v6, s29
	v_mad_u64_u32 v[14:15], s[0:1], v6, s28, 0
	s_load_dwordx2 s[0:1], s[22:23], 0x0
	s_load_dwordx2 s[28:29], s[6:7], 0x0
	v_add3_u32 v1, v15, v3, v1
	v_sub_co_u32_e32 v3, vcc, v12, v14
	v_subb_co_u32_e32 v1, vcc, v13, v1, vcc
	s_waitcnt lgkmcnt(0)
	v_mul_lo_u32 v11, s0, v1
	v_mul_lo_u32 v12, s1, v3
	v_mad_u64_u32 v[8:9], s[0:1], s0, v3, v[8:9]
	s_add_u32 s26, s26, 1
	s_addc_u32 s27, s27, 0
	s_add_u32 s6, s6, 8
	v_mul_lo_u32 v1, s28, v1
	v_mul_lo_u32 v13, s29, v3
	v_mad_u64_u32 v[4:5], s[0:1], s28, v3, v[4:5]
	v_add3_u32 v9, v12, v9, v11
	s_addc_u32 s7, s7, 0
	v_mov_b32_e32 v12, s11
	s_add_u32 s22, s22, 8
	v_mov_b32_e32 v11, s10
	s_addc_u32 s23, s23, 0
	v_cmp_ge_u64_e32 vcc, s[26:27], v[11:12]
	s_add_u32 s24, s24, 8
	v_add3_u32 v5, v13, v5, v1
	s_addc_u32 s25, s25, 0
	s_cbranch_vccnz .LBB0_8
; %bb.7:                                ;   in Loop: Header=BB0_2 Depth=1
	v_mov_b32_e32 v13, v7
	v_mov_b32_e32 v12, v6
	s_branch .LBB0_2
.LBB0_8:
	s_load_dwordx2 s[0:1], s[4:5], 0x28
	s_lshl_b64 s[10:11], s[10:11], 3
	s_add_u32 s4, s18, s10
	s_addc_u32 s5, s19, s11
                                        ; implicit-def: $vgpr61
                                        ; implicit-def: $vgpr62
                                        ; implicit-def: $vgpr63
	s_waitcnt lgkmcnt(0)
	v_cmp_gt_u64_e32 vcc, s[0:1], v[6:7]
	v_cmp_le_u64_e64 s[0:1], s[0:1], v[6:7]
	s_and_saveexec_b64 s[6:7], s[0:1]
	s_xor_b64 s[0:1], exec, s[6:7]
; %bb.9:
	s_mov_b32 s6, 0x369d037
	v_mul_hi_u32 v1, v0, s6
                                        ; implicit-def: $vgpr8_vgpr9
	v_mul_u32_u24_e32 v1, 0x4b, v1
	v_sub_u32_e32 v61, v0, v1
	v_add_u32_e32 v62, 0x4b, v61
	v_add_u32_e32 v63, 0x96, v61
                                        ; implicit-def: $vgpr0
; %bb.10:
	s_or_saveexec_b64 s[6:7], s[0:1]
	s_load_dwordx2 s[4:5], s[4:5], 0x0
                                        ; implicit-def: $vgpr10
                                        ; implicit-def: $vgpr32
                                        ; implicit-def: $vgpr34
                                        ; implicit-def: $vgpr36
                                        ; implicit-def: $vgpr38
                                        ; implicit-def: $vgpr12
                                        ; implicit-def: $vgpr24
                                        ; implicit-def: $vgpr26
                                        ; implicit-def: $vgpr28
                                        ; implicit-def: $vgpr30
                                        ; implicit-def: $vgpr14
                                        ; implicit-def: $vgpr16
                                        ; implicit-def: $vgpr18
                                        ; implicit-def: $vgpr20
                                        ; implicit-def: $vgpr22
                                        ; implicit-def: $vgpr46
                                        ; implicit-def: $vgpr44
                                        ; implicit-def: $vgpr42
                                        ; implicit-def: $vgpr40
                                        ; implicit-def: $vgpr1
	s_xor_b64 exec, exec, s[6:7]
	s_cbranch_execz .LBB0_14
; %bb.11:
	s_add_u32 s0, s16, s10
	s_mov_b32 s10, 0x369d037
	v_mul_hi_u32 v1, v0, s10
	s_addc_u32 s1, s17, s11
	s_load_dwordx2 s[0:1], s[0:1], 0x0
	v_lshlrev_b64 v[8:9], 3, v[8:9]
	v_mul_u32_u24_e32 v1, 0x4b, v1
	v_sub_u32_e32 v61, v0, v1
	v_mad_u64_u32 v[0:1], s[10:11], s20, v61, 0
	s_waitcnt lgkmcnt(0)
	v_mul_lo_u32 v3, s1, v6
	v_mul_lo_u32 v14, s0, v7
	v_mad_u64_u32 v[10:11], s[0:1], s0, v6, 0
	v_mad_u64_u32 v[12:13], s[0:1], s21, v61, v[1:2]
	v_add3_u32 v11, v11, v14, v3
	v_lshlrev_b64 v[10:11], 3, v[10:11]
	v_mov_b32_e32 v1, v12
	v_mov_b32_e32 v3, s13
	v_add_co_u32_e64 v12, s[0:1], s12, v10
	v_add_u32_e32 v14, 0xf0, v61
	v_addc_co_u32_e64 v13, s[0:1], v3, v11, s[0:1]
	v_mad_u64_u32 v[10:11], s[0:1], s20, v14, 0
	v_add_co_u32_e64 v3, s[0:1], v12, v8
	v_addc_co_u32_e64 v8, s[0:1], v13, v9, s[0:1]
	v_mov_b32_e32 v9, v11
	v_mad_u64_u32 v[11:12], s[0:1], s21, v14, v[9:10]
	v_add_u32_e32 v14, 0x1e0, v61
	v_mad_u64_u32 v[12:13], s[0:1], s20, v14, 0
	v_lshlrev_b64 v[0:1], 3, v[0:1]
	v_lshlrev_b64 v[9:10], 3, v[10:11]
	v_add_co_u32_e64 v0, s[0:1], v3, v0
	v_mov_b32_e32 v11, v13
	v_addc_co_u32_e64 v1, s[0:1], v8, v1, s[0:1]
	v_mad_u64_u32 v[13:14], s[0:1], s21, v14, v[11:12]
	v_add_u32_e32 v16, 0x2d0, v61
	v_mad_u64_u32 v[14:15], s[0:1], s20, v16, 0
	v_add_co_u32_e64 v39, s[0:1], v3, v9
	v_mov_b32_e32 v11, v15
	v_addc_co_u32_e64 v40, s[0:1], v8, v10, s[0:1]
	v_lshlrev_b64 v[9:10], 3, v[12:13]
	v_mad_u64_u32 v[11:12], s[0:1], s21, v16, v[11:12]
	v_add_u32_e32 v16, 0x3c0, v61
	v_mad_u64_u32 v[12:13], s[0:1], s20, v16, 0
	v_add_co_u32_e64 v41, s[0:1], v3, v9
	v_mov_b32_e32 v15, v11
	v_mov_b32_e32 v11, v13
	v_addc_co_u32_e64 v42, s[0:1], v8, v10, s[0:1]
	v_lshlrev_b64 v[9:10], 3, v[14:15]
	v_mad_u64_u32 v[13:14], s[0:1], s21, v16, v[11:12]
	v_add_u32_e32 v62, 0x4b, v61
	v_mad_u64_u32 v[14:15], s[0:1], s20, v62, 0
	v_add_co_u32_e64 v43, s[0:1], v3, v9
	v_mov_b32_e32 v11, v15
	v_addc_co_u32_e64 v44, s[0:1], v8, v10, s[0:1]
	v_lshlrev_b64 v[9:10], 3, v[12:13]
	v_mad_u64_u32 v[11:12], s[0:1], s21, v62, v[11:12]
	v_add_u32_e32 v16, 0x13b, v61
	v_mad_u64_u32 v[12:13], s[0:1], s20, v16, 0
	v_add_co_u32_e64 v45, s[0:1], v3, v9
	v_mov_b32_e32 v15, v11
	v_mov_b32_e32 v11, v13
	v_addc_co_u32_e64 v46, s[0:1], v8, v10, s[0:1]
	v_lshlrev_b64 v[9:10], 3, v[14:15]
	v_mad_u64_u32 v[13:14], s[0:1], s21, v16, v[11:12]
	v_add_u32_e32 v16, 0x22b, v61
	v_mad_u64_u32 v[14:15], s[0:1], s20, v16, 0
	v_add_co_u32_e64 v47, s[0:1], v3, v9
	v_mov_b32_e32 v11, v15
	v_addc_co_u32_e64 v48, s[0:1], v8, v10, s[0:1]
	v_lshlrev_b64 v[9:10], 3, v[12:13]
	v_mad_u64_u32 v[11:12], s[0:1], s21, v16, v[11:12]
	v_add_u32_e32 v16, 0x31b, v61
	v_mad_u64_u32 v[12:13], s[0:1], s20, v16, 0
	v_add_co_u32_e64 v49, s[0:1], v3, v9
	v_mov_b32_e32 v15, v11
	v_mov_b32_e32 v11, v13
	v_addc_co_u32_e64 v50, s[0:1], v8, v10, s[0:1]
	v_lshlrev_b64 v[9:10], 3, v[14:15]
	v_mad_u64_u32 v[13:14], s[0:1], s21, v16, v[11:12]
	v_add_u32_e32 v16, 0x40b, v61
	v_mad_u64_u32 v[14:15], s[0:1], s20, v16, 0
	v_add_co_u32_e64 v51, s[0:1], v3, v9
	v_mov_b32_e32 v11, v15
	v_addc_co_u32_e64 v52, s[0:1], v8, v10, s[0:1]
	v_lshlrev_b64 v[9:10], 3, v[12:13]
	v_mad_u64_u32 v[11:12], s[0:1], s21, v16, v[11:12]
	v_add_u32_e32 v63, 0x96, v61
	v_mad_u64_u32 v[12:13], s[0:1], s20, v63, 0
	v_add_co_u32_e64 v53, s[0:1], v3, v9
	v_mov_b32_e32 v15, v11
	v_mov_b32_e32 v11, v13
	v_addc_co_u32_e64 v54, s[0:1], v8, v10, s[0:1]
	v_lshlrev_b64 v[9:10], 3, v[14:15]
	v_mad_u64_u32 v[13:14], s[0:1], s21, v63, v[11:12]
	v_add_u32_e32 v16, 0x186, v61
	v_mad_u64_u32 v[14:15], s[0:1], s20, v16, 0
	v_add_co_u32_e64 v55, s[0:1], v3, v9
	v_mov_b32_e32 v11, v15
	v_addc_co_u32_e64 v56, s[0:1], v8, v10, s[0:1]
	v_lshlrev_b64 v[9:10], 3, v[12:13]
	v_mad_u64_u32 v[11:12], s[0:1], s21, v16, v[11:12]
	v_add_u32_e32 v16, 0x276, v61
	v_mad_u64_u32 v[12:13], s[0:1], s20, v16, 0
	v_add_co_u32_e64 v57, s[0:1], v3, v9
	v_mov_b32_e32 v15, v11
	v_mov_b32_e32 v11, v13
	v_addc_co_u32_e64 v58, s[0:1], v8, v10, s[0:1]
	v_lshlrev_b64 v[9:10], 3, v[14:15]
	v_mad_u64_u32 v[13:14], s[0:1], s21, v16, v[11:12]
	v_add_u32_e32 v16, 0x366, v61
	v_mad_u64_u32 v[14:15], s[0:1], s20, v16, 0
	v_add_co_u32_e64 v59, s[0:1], v3, v9
	v_mov_b32_e32 v11, v15
	v_addc_co_u32_e64 v60, s[0:1], v8, v10, s[0:1]
	v_lshlrev_b64 v[9:10], 3, v[12:13]
	v_mad_u64_u32 v[11:12], s[0:1], s21, v16, v[11:12]
	v_add_u32_e32 v16, 0x456, v61
	v_mad_u64_u32 v[12:13], s[0:1], s20, v16, 0
	v_add_co_u32_e64 v64, s[0:1], v3, v9
	v_mov_b32_e32 v15, v11
	v_mov_b32_e32 v11, v13
	v_addc_co_u32_e64 v65, s[0:1], v8, v10, s[0:1]
	v_lshlrev_b64 v[9:10], 3, v[14:15]
	v_mad_u64_u32 v[13:14], s[0:1], s21, v16, v[11:12]
	v_add_co_u32_e64 v66, s[0:1], v3, v9
	v_addc_co_u32_e64 v67, s[0:1], v8, v10, s[0:1]
	v_lshlrev_b64 v[9:10], 3, v[12:13]
	v_add_co_u32_e64 v68, s[0:1], v3, v9
	v_addc_co_u32_e64 v69, s[0:1], v8, v10, s[0:1]
	global_load_dwordx2 v[9:10], v[0:1], off
	global_load_dwordx2 v[31:32], v[39:40], off
	;; [unrolled: 1-line block ×15, first 2 shown]
	v_cmp_gt_u32_e64 s[0:1], 15, v61
                                        ; implicit-def: $vgpr0
                                        ; implicit-def: $vgpr39
                                        ; implicit-def: $vgpr41
                                        ; implicit-def: $vgpr43
                                        ; implicit-def: $vgpr45
	s_and_saveexec_b64 s[10:11], s[0:1]
	s_cbranch_execz .LBB0_13
; %bb.12:
	v_add_u32_e32 v41, 0xe1, v61
	v_mad_u64_u32 v[0:1], s[0:1], s20, v41, 0
	v_add_u32_e32 v43, 0x1d1, v61
	v_mad_u64_u32 v[39:40], s[0:1], s20, v43, 0
	v_mad_u64_u32 v[41:42], s[0:1], s21, v41, v[1:2]
	v_mov_b32_e32 v1, v41
	v_mad_u64_u32 v[40:41], s[0:1], s21, v43, v[40:41]
	v_add_u32_e32 v43, 0x2c1, v61
	v_mad_u64_u32 v[41:42], s[0:1], s20, v43, 0
	v_lshlrev_b64 v[0:1], 3, v[0:1]
	v_add_co_u32_e64 v45, s[0:1], v3, v0
	v_addc_co_u32_e64 v46, s[0:1], v8, v1, s[0:1]
	v_lshlrev_b64 v[0:1], 3, v[39:40]
	v_mov_b32_e32 v39, v42
	v_mad_u64_u32 v[39:40], s[0:1], s21, v43, v[39:40]
	v_add_u32_e32 v40, 0x3b1, v61
	v_mad_u64_u32 v[43:44], s[0:1], s20, v40, 0
	v_add_co_u32_e64 v47, s[0:1], v3, v0
	v_mov_b32_e32 v42, v39
	v_mov_b32_e32 v39, v44
	v_addc_co_u32_e64 v48, s[0:1], v8, v1, s[0:1]
	v_mad_u64_u32 v[39:40], s[0:1], s21, v40, v[39:40]
	v_lshlrev_b64 v[0:1], 3, v[41:42]
	v_add_co_u32_e64 v49, s[0:1], v3, v0
	v_mov_b32_e32 v44, v39
	v_add_u32_e32 v39, 0x4a1, v61
	v_addc_co_u32_e64 v50, s[0:1], v8, v1, s[0:1]
	v_mad_u64_u32 v[51:52], s[0:1], s20, v39, 0
	v_lshlrev_b64 v[0:1], 3, v[43:44]
	v_add_co_u32_e64 v53, s[0:1], v3, v0
	v_mov_b32_e32 v0, v52
	v_addc_co_u32_e64 v54, s[0:1], v8, v1, s[0:1]
	v_mad_u64_u32 v[55:56], s[0:1], s21, v39, v[0:1]
	global_load_dwordx2 v[0:1], v[45:46], off
	global_load_dwordx2 v[39:40], v[47:48], off
	;; [unrolled: 1-line block ×4, first 2 shown]
	v_mov_b32_e32 v52, v55
	v_lshlrev_b64 v[45:46], 3, v[51:52]
	v_add_co_u32_e64 v45, s[0:1], v3, v45
	v_addc_co_u32_e64 v46, s[0:1], v8, v46, s[0:1]
	global_load_dwordx2 v[45:46], v[45:46], off
.LBB0_13:
	s_or_b64 exec, exec, s[10:11]
.LBB0_14:
	s_or_b64 exec, exec, s[6:7]
	s_mov_b32 s0, 0xaaaaaaab
	v_mul_hi_u32 v3, v2, s0
	s_waitcnt vmcnt(11)
	v_add_f32_e32 v47, v33, v35
	v_fma_f32 v47, -0.5, v47, v9
	v_mov_b32_e32 v48, v47
	v_lshrrev_b32_e32 v3, 1, v3
	v_lshl_add_u32 v3, v3, 1, v3
	v_sub_u32_e32 v2, v2, v3
	s_waitcnt vmcnt(10)
	v_sub_f32_e32 v3, v32, v38
	v_fmac_f32_e32 v48, 0xbf737871, v3
	v_sub_f32_e32 v49, v34, v36
	v_sub_f32_e32 v50, v31, v33
	;; [unrolled: 1-line block ×3, first 2 shown]
	v_fmac_f32_e32 v47, 0x3f737871, v3
	v_fmac_f32_e32 v48, 0xbf167918, v49
	v_add_f32_e32 v50, v50, v51
	v_fmac_f32_e32 v47, 0x3f167918, v49
	v_fmac_f32_e32 v48, 0x3e9e377a, v50
	;; [unrolled: 1-line block ×3, first 2 shown]
	v_add_f32_e32 v50, v31, v37
	v_add_f32_e32 v8, v9, v31
	v_fmac_f32_e32 v9, -0.5, v50
	v_mov_b32_e32 v50, v9
	v_fmac_f32_e32 v50, 0x3f737871, v49
	v_fmac_f32_e32 v9, 0xbf737871, v49
	;; [unrolled: 1-line block ×3, first 2 shown]
	v_sub_f32_e32 v51, v33, v31
	v_sub_f32_e32 v52, v35, v37
	v_fmac_f32_e32 v9, 0x3f167918, v3
	s_waitcnt vmcnt(6)
	v_add_f32_e32 v3, v25, v27
	v_add_f32_e32 v51, v51, v52
	v_fma_f32 v3, -0.5, v3, v11
	v_fmac_f32_e32 v50, 0x3e9e377a, v51
	v_fmac_f32_e32 v9, 0x3e9e377a, v51
	s_waitcnt vmcnt(5)
	v_sub_f32_e32 v49, v24, v30
	v_mov_b32_e32 v51, v3
	v_sub_f32_e32 v52, v23, v25
	v_sub_f32_e32 v53, v29, v27
	v_fmac_f32_e32 v51, 0xbf737871, v49
	v_add_f32_e32 v52, v52, v53
	v_sub_f32_e32 v53, v26, v28
	v_fmac_f32_e32 v3, 0x3f737871, v49
	v_fmac_f32_e32 v51, 0xbf167918, v53
	;; [unrolled: 1-line block ×3, first 2 shown]
	v_add_f32_e32 v54, v23, v29
	v_fmac_f32_e32 v51, 0x3e9e377a, v52
	v_fmac_f32_e32 v3, 0x3e9e377a, v52
	v_add_f32_e32 v52, v11, v23
	v_fmac_f32_e32 v11, -0.5, v54
	v_sub_f32_e32 v54, v25, v23
	v_sub_f32_e32 v55, v27, v29
	v_add_f32_e32 v54, v54, v55
	v_mov_b32_e32 v55, v11
	v_fmac_f32_e32 v55, 0x3f737871, v53
	v_fmac_f32_e32 v11, 0xbf737871, v53
	v_add_f32_e32 v8, v8, v33
	v_mul_u32_u24_e32 v2, 0x4b0, v2
	v_fmac_f32_e32 v55, 0xbf167918, v49
	v_fmac_f32_e32 v11, 0x3f167918, v49
	v_add_f32_e32 v8, v8, v35
	v_mul_u32_u24_e32 v49, 20, v61
	v_lshlrev_b32_e32 v67, 2, v2
	v_add_f32_e32 v8, v8, v37
	v_add3_u32 v74, 0, v49, v67
	ds_write2_b32 v74, v8, v48 offset1:1
	v_add_f32_e32 v48, v52, v25
	s_waitcnt vmcnt(1)
	v_add_f32_e32 v2, v17, v19
	v_add_f32_e32 v48, v48, v27
	ds_write_b32 v74, v47 offset:16
	v_mul_i32_i24_e32 v47, 20, v62
	v_fma_f32 v8, -0.5, v2, v13
	v_add_f32_e32 v48, v48, v29
	v_add3_u32 v75, 0, v47, v67
	s_waitcnt vmcnt(0)
	v_sub_f32_e32 v2, v16, v22
	ds_write2_b32 v74, v50, v9 offset0:2 offset1:3
	v_mov_b32_e32 v9, v8
	ds_write2_b32 v75, v48, v51 offset1:1
	v_sub_f32_e32 v47, v15, v17
	v_sub_f32_e32 v48, v21, v19
	v_fmac_f32_e32 v9, 0xbf737871, v2
	v_add_f32_e32 v47, v47, v48
	v_sub_f32_e32 v48, v18, v20
	v_fmac_f32_e32 v8, 0x3f737871, v2
	v_fmac_f32_e32 v9, 0xbf167918, v48
	v_fmac_f32_e32 v8, 0x3f167918, v48
	v_fmac_f32_e32 v55, 0x3e9e377a, v54
	v_fmac_f32_e32 v11, 0x3e9e377a, v54
	v_fmac_f32_e32 v9, 0x3e9e377a, v47
	v_fmac_f32_e32 v8, 0x3e9e377a, v47
	v_add_f32_e32 v47, v13, v15
	ds_write2_b32 v75, v55, v11 offset0:2 offset1:3
	v_add_f32_e32 v11, v47, v17
	v_add_f32_e32 v11, v11, v19
	ds_write_b32 v75, v3 offset:16
	v_mul_i32_i24_e32 v3, 20, v63
	v_add_f32_e32 v11, v11, v21
	v_add3_u32 v76, 0, v3, v67
	ds_write2_b32 v76, v11, v9 offset1:1
	v_sub_f32_e32 v3, v39, v41
	v_sub_f32_e32 v9, v45, v43
	v_add_f32_e32 v49, v15, v21
	v_add_f32_e32 v9, v9, v3
	v_add_f32_e32 v3, v43, v41
	v_fmac_f32_e32 v13, -0.5, v49
	v_sub_f32_e32 v49, v17, v15
	v_sub_f32_e32 v50, v19, v21
	v_fma_f32 v73, -0.5, v3, v0
	v_add_f32_e32 v49, v49, v50
	v_mov_b32_e32 v50, v13
	v_mov_b32_e32 v3, v73
	v_sub_f32_e32 v11, v40, v46
	v_fmac_f32_e32 v50, 0x3f737871, v48
	v_fmac_f32_e32 v13, 0xbf737871, v48
	;; [unrolled: 1-line block ×3, first 2 shown]
	v_sub_f32_e32 v48, v42, v44
	v_fmac_f32_e32 v73, 0x3f737871, v11
	v_fmac_f32_e32 v3, 0xbf167918, v48
	;; [unrolled: 1-line block ×5, first 2 shown]
	v_add_f32_e32 v9, v45, v39
	v_fmac_f32_e32 v50, 0xbf167918, v2
	v_fmac_f32_e32 v13, 0x3f167918, v2
	v_add_f32_e32 v2, v39, v0
	v_fmac_f32_e32 v0, -0.5, v9
	v_sub_f32_e32 v9, v41, v39
	v_sub_f32_e32 v47, v43, v45
	v_add_f32_e32 v9, v47, v9
	v_mov_b32_e32 v47, v0
	v_add_f32_e32 v2, v41, v2
	v_fmac_f32_e32 v47, 0x3f737871, v48
	v_fmac_f32_e32 v0, 0xbf737871, v48
	;; [unrolled: 1-line block ×4, first 2 shown]
	v_add_f32_e32 v2, v43, v2
	v_fmac_f32_e32 v47, 0xbf167918, v11
	v_fmac_f32_e32 v0, 0x3f167918, v11
	v_add_u32_e32 v64, 0xe1, v61
	v_add_f32_e32 v2, v45, v2
	v_fmac_f32_e32 v47, 0x3e9e377a, v9
	v_fmac_f32_e32 v0, 0x3e9e377a, v9
	ds_write2_b32 v76, v50, v13 offset0:2 offset1:3
	ds_write_b32 v76, v8 offset:16
	v_cmp_gt_u32_e64 s[0:1], 15, v61
	v_mul_u32_u24_e32 v13, 20, v64
	s_and_saveexec_b64 s[6:7], s[0:1]
	s_cbranch_execz .LBB0_16
; %bb.15:
	v_add3_u32 v8, 0, v13, v67
	ds_write2_b32 v8, v2, v3 offset1:1
	ds_write2_b32 v8, v47, v0 offset0:2 offset1:3
	ds_write_b32 v8, v73 offset:16
.LBB0_16:
	s_or_b64 exec, exec, s[6:7]
	v_lshlrev_b32_e32 v9, 2, v61
	v_add_u32_e32 v8, 0, v67
	v_add3_u32 v65, 0, v9, v67
	v_add_u32_e32 v66, v8, v9
	v_add_u32_e32 v9, 0x200, v65
	s_waitcnt lgkmcnt(0)
	s_barrier
	ds_read2_b32 v[59:60], v9 offset0:112 offset1:187
	v_add_u32_e32 v9, 0x400, v65
	ds_read2_b32 v[53:54], v9 offset0:134 offset1:224
	v_add_u32_e32 v9, 0xa00, v65
	;; [unrolled: 2-line block ×5, first 2 shown]
	v_lshl_add_u32 v68, v62, 2, v8
	ds_read2_b32 v[51:52], v9 offset0:11 offset1:86
	v_lshl_add_u32 v69, v63, 2, v8
	ds_read_b32 v72, v66
	ds_read_b32 v71, v68
	;; [unrolled: 1-line block ×3, first 2 shown]
	s_and_saveexec_b64 s[6:7], s[0:1]
	s_cbranch_execz .LBB0_18
; %bb.17:
	v_add_u32_e32 v0, 0x380, v65
	ds_read2_b32 v[2:3], v0 offset0:1 offset1:241
	v_add_u32_e32 v0, 0xb00, v65
	ds_read2_b32 v[47:48], v0 offset0:1 offset1:241
	ds_read_b32 v73, v65 offset:4740
	s_waitcnt lgkmcnt(1)
	v_mov_b32_e32 v0, v48
.LBB0_18:
	s_or_b64 exec, exec, s[6:7]
	v_add_f32_e32 v8, v10, v32
	v_add_f32_e32 v8, v8, v34
	;; [unrolled: 1-line block ×5, first 2 shown]
	v_fma_f32 v77, -0.5, v8, v10
	v_sub_f32_e32 v8, v31, v37
	v_mov_b32_e32 v31, v77
	v_fmac_f32_e32 v31, 0x3f737871, v8
	v_sub_f32_e32 v9, v33, v35
	v_sub_f32_e32 v11, v32, v34
	;; [unrolled: 1-line block ×3, first 2 shown]
	v_fmac_f32_e32 v77, 0xbf737871, v8
	v_fmac_f32_e32 v31, 0x3f167918, v9
	v_add_f32_e32 v11, v11, v33
	v_fmac_f32_e32 v77, 0xbf167918, v9
	v_fmac_f32_e32 v31, 0x3e9e377a, v11
	;; [unrolled: 1-line block ×3, first 2 shown]
	v_add_f32_e32 v11, v32, v38
	v_fmac_f32_e32 v10, -0.5, v11
	v_mov_b32_e32 v35, v10
	v_fmac_f32_e32 v35, 0xbf737871, v9
	v_fmac_f32_e32 v10, 0x3f737871, v9
	v_fmac_f32_e32 v35, 0x3f167918, v8
	v_fmac_f32_e32 v10, 0xbf167918, v8
	v_add_f32_e32 v8, v12, v24
	v_add_f32_e32 v8, v8, v26
	v_sub_f32_e32 v11, v34, v32
	v_sub_f32_e32 v32, v36, v38
	v_add_f32_e32 v8, v8, v28
	v_add_f32_e32 v11, v11, v32
	;; [unrolled: 1-line block ×4, first 2 shown]
	v_fma_f32 v34, -0.5, v8, v12
	v_sub_f32_e32 v8, v23, v29
	v_mov_b32_e32 v23, v34
	v_fmac_f32_e32 v35, 0x3e9e377a, v11
	v_fmac_f32_e32 v10, 0x3e9e377a, v11
	;; [unrolled: 1-line block ×3, first 2 shown]
	v_sub_f32_e32 v9, v25, v27
	v_sub_f32_e32 v11, v24, v26
	;; [unrolled: 1-line block ×3, first 2 shown]
	v_fmac_f32_e32 v34, 0xbf737871, v8
	v_fmac_f32_e32 v23, 0x3f167918, v9
	v_add_f32_e32 v11, v11, v25
	v_fmac_f32_e32 v34, 0xbf167918, v9
	v_fmac_f32_e32 v23, 0x3e9e377a, v11
	;; [unrolled: 1-line block ×3, first 2 shown]
	v_add_f32_e32 v11, v24, v30
	v_fmac_f32_e32 v12, -0.5, v11
	v_mov_b32_e32 v25, v12
	v_fmac_f32_e32 v25, 0xbf737871, v9
	v_fmac_f32_e32 v12, 0x3f737871, v9
	;; [unrolled: 1-line block ×4, first 2 shown]
	v_add_f32_e32 v8, v14, v16
	v_add_f32_e32 v8, v8, v18
	v_sub_f32_e32 v11, v26, v24
	v_sub_f32_e32 v24, v28, v30
	v_add_f32_e32 v8, v8, v20
	v_add_f32_e32 v11, v11, v24
	;; [unrolled: 1-line block ×4, first 2 shown]
	v_fma_f32 v26, -0.5, v8, v14
	v_sub_f32_e32 v8, v15, v21
	v_mov_b32_e32 v15, v26
	v_fmac_f32_e32 v25, 0x3e9e377a, v11
	v_fmac_f32_e32 v12, 0x3e9e377a, v11
	;; [unrolled: 1-line block ×3, first 2 shown]
	v_sub_f32_e32 v9, v17, v19
	v_sub_f32_e32 v11, v16, v18
	;; [unrolled: 1-line block ×3, first 2 shown]
	v_fmac_f32_e32 v26, 0xbf737871, v8
	v_fmac_f32_e32 v15, 0x3f167918, v9
	v_add_f32_e32 v11, v11, v17
	v_fmac_f32_e32 v26, 0xbf167918, v9
	v_fmac_f32_e32 v15, 0x3e9e377a, v11
	;; [unrolled: 1-line block ×3, first 2 shown]
	v_add_f32_e32 v11, v16, v22
	v_fmac_f32_e32 v14, -0.5, v11
	v_mov_b32_e32 v17, v14
	v_fmac_f32_e32 v17, 0xbf737871, v9
	v_fmac_f32_e32 v14, 0x3f737871, v9
	v_add_f32_e32 v9, v44, v42
	v_sub_f32_e32 v11, v18, v16
	v_sub_f32_e32 v16, v20, v22
	v_fma_f32 v33, -0.5, v9, v1
	v_fmac_f32_e32 v17, 0x3f167918, v8
	v_add_f32_e32 v11, v11, v16
	v_fmac_f32_e32 v14, 0xbf167918, v8
	v_sub_f32_e32 v16, v39, v45
	v_mov_b32_e32 v9, v33
	v_fmac_f32_e32 v17, 0x3e9e377a, v11
	v_fmac_f32_e32 v14, 0x3e9e377a, v11
	;; [unrolled: 1-line block ×3, first 2 shown]
	v_sub_f32_e32 v18, v41, v43
	v_sub_f32_e32 v11, v40, v42
	;; [unrolled: 1-line block ×3, first 2 shown]
	v_fmac_f32_e32 v33, 0xbf737871, v16
	v_fmac_f32_e32 v9, 0x3f167918, v18
	v_add_f32_e32 v11, v19, v11
	v_fmac_f32_e32 v33, 0xbf167918, v18
	v_fmac_f32_e32 v9, 0x3e9e377a, v11
	;; [unrolled: 1-line block ×3, first 2 shown]
	v_add_f32_e32 v11, v46, v40
	v_add_f32_e32 v8, v40, v1
	v_fmac_f32_e32 v1, -0.5, v11
	v_mov_b32_e32 v11, v1
	v_add_f32_e32 v8, v42, v8
	v_fmac_f32_e32 v11, 0xbf737871, v18
	v_sub_f32_e32 v19, v42, v40
	v_sub_f32_e32 v20, v44, v46
	v_fmac_f32_e32 v1, 0x3f737871, v18
	v_add_f32_e32 v8, v44, v8
	v_fmac_f32_e32 v11, 0x3f167918, v16
	v_add_f32_e32 v19, v20, v19
	;; [unrolled: 2-line block ×3, first 2 shown]
	v_fmac_f32_e32 v11, 0x3e9e377a, v19
	v_fmac_f32_e32 v1, 0x3e9e377a, v19
	s_waitcnt lgkmcnt(0)
	s_barrier
	ds_write2_b32 v74, v48, v31 offset1:1
	ds_write2_b32 v74, v35, v10 offset0:2 offset1:3
	ds_write_b32 v74, v77 offset:16
	ds_write2_b32 v75, v32, v23 offset1:1
	ds_write2_b32 v75, v25, v12 offset0:2 offset1:3
	ds_write_b32 v75, v34 offset:16
	;; [unrolled: 3-line block ×3, first 2 shown]
	s_and_saveexec_b64 s[6:7], s[0:1]
	s_cbranch_execz .LBB0_20
; %bb.19:
	v_add3_u32 v10, 0, v13, v67
	ds_write2_b32 v10, v8, v9 offset1:1
	ds_write2_b32 v10, v11, v1 offset0:2 offset1:3
	ds_write_b32 v10, v33 offset:16
.LBB0_20:
	s_or_b64 exec, exec, s[6:7]
	v_add_u32_e32 v10, 0x200, v65
	s_waitcnt lgkmcnt(0)
	s_barrier
	ds_read2_b32 v[23:24], v10 offset0:112 offset1:187
	v_add_u32_e32 v10, 0x400, v65
	ds_read2_b32 v[17:18], v10 offset0:134 offset1:224
	v_add_u32_e32 v10, 0xa00, v65
	;; [unrolled: 2-line block ×5, first 2 shown]
	ds_read2_b32 v[15:16], v10 offset0:11 offset1:86
	ds_read_b32 v27, v66
	ds_read_b32 v26, v68
	;; [unrolled: 1-line block ×3, first 2 shown]
	s_and_saveexec_b64 s[6:7], s[0:1]
	s_cbranch_execz .LBB0_22
; %bb.21:
	v_add_u32_e32 v1, 0x380, v65
	ds_read2_b32 v[8:9], v1 offset0:1 offset1:241
	v_add_u32_e32 v1, 0xb00, v65
	ds_read2_b32 v[11:12], v1 offset0:1 offset1:241
	ds_read_b32 v33, v65 offset:4740
	s_waitcnt lgkmcnt(1)
	v_mov_b32_e32 v1, v12
.LBB0_22:
	s_or_b64 exec, exec, s[6:7]
	s_movk_i32 s10, 0xcd
	v_mul_lo_u16_sdwa v10, v61, s10 dst_sel:DWORD dst_unused:UNUSED_PAD src0_sel:BYTE_0 src1_sel:DWORD
	v_lshrrev_b16_e32 v39, 10, v10
	v_mul_lo_u16_e32 v10, 5, v39
	v_sub_u16_e32 v10, v61, v10
	v_mov_b32_e32 v46, 2
	v_mov_b32_e32 v48, 5
	v_lshlrev_b32_sdwa v41, v46, v10 dst_sel:DWORD dst_unused:UNUSED_PAD src0_sel:DWORD src1_sel:BYTE_0
	v_lshlrev_b32_sdwa v10, v48, v10 dst_sel:DWORD dst_unused:UNUSED_PAD src0_sel:DWORD src1_sel:BYTE_0
	global_load_dwordx4 v[34:37], v10, s[8:9] offset:16
	global_load_dwordx4 v[29:32], v10, s[8:9]
	s_mov_b32 s6, 0xcccd
	s_movk_i32 s11, 0x64
	v_mad_u32_u24 v39, v39, s11, 0
	v_add3_u32 v41, v39, v41, v67
	s_waitcnt vmcnt(0)
	v_mul_f32_e32 v10, v59, v30
	v_mul_f32_e32 v12, v54, v32
	s_waitcnt lgkmcnt(8)
	v_mul_f32_e32 v28, v23, v30
	v_fma_f32 v10, v23, v29, -v10
	s_waitcnt lgkmcnt(7)
	v_mul_f32_e32 v23, v18, v32
	v_fma_f32 v12, v18, v31, -v12
	v_mul_f32_e32 v18, v57, v35
	v_fmac_f32_e32 v28, v59, v29
	s_waitcnt lgkmcnt(6)
	v_mul_f32_e32 v29, v21, v35
	v_fma_f32 v18, v21, v34, -v18
	v_mul_f32_e32 v21, v50, v37
	s_waitcnt lgkmcnt(5)
	v_mul_f32_e32 v30, v14, v37
	v_fma_f32 v21, v14, v36, -v21
	v_mul_lo_u16_sdwa v14, v62, s10 dst_sel:DWORD dst_unused:UNUSED_PAD src0_sel:BYTE_0 src1_sel:DWORD
	v_fmac_f32_e32 v23, v54, v31
	v_lshrrev_b16_e32 v54, 10, v14
	v_mul_lo_u16_e32 v14, 5, v54
	v_sub_u16_e32 v14, v62, v14
	v_lshlrev_b32_sdwa v78, v46, v14 dst_sel:DWORD dst_unused:UNUSED_PAD src0_sel:DWORD src1_sel:BYTE_0
	v_lshlrev_b32_sdwa v14, v48, v14 dst_sel:DWORD dst_unused:UNUSED_PAD src0_sel:DWORD src1_sel:BYTE_0
	global_load_dwordx4 v[42:45], v14, s[8:9] offset:16
	global_load_dwordx4 v[74:77], v14, s[8:9]
	v_fmac_f32_e32 v30, v50, v36
	v_fmac_f32_e32 v29, v57, v34
	v_mad_u32_u24 v39, v54, s11, 0
	s_waitcnt vmcnt(1)
	v_mul_f32_e32 v38, v22, v43
	s_waitcnt vmcnt(0)
	v_mul_f32_e32 v14, v60, v75
	v_mul_f32_e32 v36, v24, v75
	v_fma_f32 v24, v24, v74, -v14
	v_mul_f32_e32 v14, v55, v77
	s_waitcnt lgkmcnt(4)
	v_mul_f32_e32 v37, v19, v77
	v_fma_f32 v19, v19, v76, -v14
	v_mul_f32_e32 v14, v58, v43
	v_fma_f32 v31, v22, v42, -v14
	v_mul_f32_e32 v14, v51, v45
	s_waitcnt lgkmcnt(3)
	v_fma_f32 v32, v15, v44, -v14
	v_mul_lo_u16_sdwa v14, v63, s10 dst_sel:DWORD dst_unused:UNUSED_PAD src0_sel:BYTE_0 src1_sel:DWORD
	v_fmac_f32_e32 v37, v55, v76
	v_lshrrev_b16_e32 v55, 10, v14
	v_mul_lo_u16_e32 v14, 5, v55
	v_sub_u16_e32 v14, v63, v14
	v_fmac_f32_e32 v36, v60, v74
	v_mul_f32_e32 v40, v15, v45
	v_lshlrev_b32_sdwa v74, v46, v14 dst_sel:DWORD dst_unused:UNUSED_PAD src0_sel:DWORD src1_sel:BYTE_0
	v_lshlrev_b32_sdwa v14, v48, v14 dst_sel:DWORD dst_unused:UNUSED_PAD src0_sel:DWORD src1_sel:BYTE_0
	v_fmac_f32_e32 v38, v58, v42
	v_fmac_f32_e32 v40, v51, v44
	global_load_dwordx4 v[42:45], v14, s[8:9] offset:16
	global_load_dwordx4 v[57:60], v14, s[8:9]
	s_waitcnt vmcnt(1)
	v_mul_f32_e32 v34, v49, v43
	s_waitcnt vmcnt(0)
	v_mul_f32_e32 v14, v53, v58
	v_mul_f32_e32 v15, v56, v60
	;; [unrolled: 1-line block ×3, first 2 shown]
	v_fma_f32 v14, v17, v57, -v14
	v_mul_f32_e32 v17, v20, v60
	v_fma_f32 v15, v20, v59, -v15
	v_mul_f32_e32 v20, v13, v43
	;; [unrolled: 2-line block ×3, first 2 shown]
	v_mul_f32_e32 v35, v16, v45
	v_fma_f32 v16, v16, v44, -v34
	v_mul_u32_u24_sdwa v34, v64, s6 dst_sel:DWORD dst_unused:UNUSED_PAD src0_sel:WORD_0 src1_sel:DWORD
	v_lshrrev_b32_e32 v34, 18, v34
	v_mul_lo_u16_e32 v34, 5, v34
	v_fmac_f32_e32 v22, v53, v57
	v_sub_u16_e32 v53, v64, v34
	v_lshlrev_b32_e32 v34, 5, v53
	v_fmac_f32_e32 v20, v49, v42
	v_fmac_f32_e32 v35, v52, v44
	global_load_dwordx4 v[48:51], v34, s[8:9] offset:16
	global_load_dwordx4 v[43:46], v34, s[8:9]
	v_fmac_f32_e32 v17, v56, v59
	s_waitcnt vmcnt(0) lgkmcnt(0)
	s_barrier
	v_mul_f32_e32 v42, v9, v44
	v_fmac_f32_e32 v42, v3, v43
	v_mul_f32_e32 v3, v3, v44
	v_fma_f32 v3, v9, v43, -v3
	v_mul_f32_e32 v43, v1, v49
	v_fmac_f32_e32 v43, v0, v48
	v_mul_f32_e32 v0, v0, v49
	v_fma_f32 v0, v1, v48, -v0
	v_mul_f32_e32 v1, v73, v51
	v_mul_f32_e32 v44, v33, v51
	v_fma_f32 v1, v33, v50, -v1
	v_add_f32_e32 v33, v72, v28
	v_add_f32_e32 v33, v33, v23
	v_mul_f32_e32 v9, v11, v46
	v_mul_f32_e32 v34, v47, v46
	v_add_f32_e32 v33, v33, v29
	v_fmac_f32_e32 v9, v47, v45
	v_fma_f32 v11, v11, v45, -v34
	v_add_f32_e32 v45, v33, v30
	v_add_f32_e32 v33, v23, v29
	v_fma_f32 v46, -0.5, v33, v72
	v_sub_f32_e32 v33, v10, v21
	v_mov_b32_e32 v56, v46
	v_fmac_f32_e32 v56, 0xbf737871, v33
	v_sub_f32_e32 v34, v12, v18
	v_sub_f32_e32 v47, v28, v23
	;; [unrolled: 1-line block ×3, first 2 shown]
	v_fmac_f32_e32 v46, 0x3f737871, v33
	v_fmac_f32_e32 v56, 0xbf167918, v34
	v_add_f32_e32 v47, v47, v48
	v_fmac_f32_e32 v46, 0x3f167918, v34
	v_fmac_f32_e32 v56, 0x3e9e377a, v47
	;; [unrolled: 1-line block ×3, first 2 shown]
	v_add_f32_e32 v47, v28, v30
	v_fmac_f32_e32 v72, -0.5, v47
	v_mov_b32_e32 v57, v72
	v_fmac_f32_e32 v57, 0x3f737871, v34
	v_fmac_f32_e32 v72, 0xbf737871, v34
	;; [unrolled: 1-line block ×4, first 2 shown]
	v_add_f32_e32 v33, v71, v36
	v_add_f32_e32 v33, v33, v37
	;; [unrolled: 1-line block ×5, first 2 shown]
	v_sub_f32_e32 v47, v23, v28
	v_sub_f32_e32 v48, v29, v30
	v_fma_f32 v59, -0.5, v33, v71
	v_add_f32_e32 v47, v47, v48
	v_sub_f32_e32 v33, v24, v32
	v_mov_b32_e32 v60, v59
	v_fmac_f32_e32 v57, 0x3e9e377a, v47
	v_fmac_f32_e32 v72, 0x3e9e377a, v47
	;; [unrolled: 1-line block ×3, first 2 shown]
	v_sub_f32_e32 v34, v19, v31
	v_sub_f32_e32 v47, v36, v37
	v_sub_f32_e32 v48, v40, v38
	v_fmac_f32_e32 v59, 0x3f737871, v33
	v_fmac_f32_e32 v60, 0xbf167918, v34
	v_add_f32_e32 v47, v47, v48
	v_fmac_f32_e32 v59, 0x3f167918, v34
	v_fmac_f32_e32 v60, 0x3e9e377a, v47
	;; [unrolled: 1-line block ×3, first 2 shown]
	v_add_f32_e32 v47, v36, v40
	v_fmac_f32_e32 v71, -0.5, v47
	v_fmac_f32_e32 v44, v73, v50
	v_mov_b32_e32 v73, v71
	v_fmac_f32_e32 v73, 0x3f737871, v34
	v_fmac_f32_e32 v71, 0xbf737871, v34
	;; [unrolled: 1-line block ×4, first 2 shown]
	v_add_f32_e32 v33, v70, v22
	v_add_f32_e32 v33, v33, v17
	;; [unrolled: 1-line block ×5, first 2 shown]
	v_sub_f32_e32 v47, v37, v36
	v_sub_f32_e32 v48, v38, v40
	v_fma_f32 v76, -0.5, v33, v70
	v_add_f32_e32 v47, v47, v48
	v_sub_f32_e32 v33, v14, v16
	v_mov_b32_e32 v77, v76
	v_fmac_f32_e32 v73, 0x3e9e377a, v47
	v_fmac_f32_e32 v71, 0x3e9e377a, v47
	v_fmac_f32_e32 v77, 0xbf737871, v33
	v_sub_f32_e32 v34, v15, v13
	v_sub_f32_e32 v47, v22, v17
	;; [unrolled: 1-line block ×3, first 2 shown]
	v_fmac_f32_e32 v76, 0x3f737871, v33
	v_fmac_f32_e32 v77, 0xbf167918, v34
	v_add_f32_e32 v47, v47, v48
	v_fmac_f32_e32 v76, 0x3f167918, v34
	v_fmac_f32_e32 v77, 0x3e9e377a, v47
	v_fmac_f32_e32 v76, 0x3e9e377a, v47
	v_add_f32_e32 v47, v22, v35
	v_fmac_f32_e32 v70, -0.5, v47
	v_mov_b32_e32 v79, v70
	v_fmac_f32_e32 v79, 0x3f737871, v34
	v_sub_f32_e32 v47, v17, v22
	v_sub_f32_e32 v48, v20, v35
	v_fmac_f32_e32 v70, 0xbf737871, v34
	v_sub_f32_e32 v34, v42, v9
	v_sub_f32_e32 v50, v44, v43
	v_fmac_f32_e32 v79, 0xbf167918, v33
	v_add_f32_e32 v47, v47, v48
	v_fmac_f32_e32 v70, 0x3f167918, v33
	v_add_f32_e32 v33, v9, v43
	v_add_f32_e32 v51, v34, v50
	;; [unrolled: 1-line block ×3, first 2 shown]
	v_fmac_f32_e32 v79, 0x3e9e377a, v47
	v_fmac_f32_e32 v70, 0x3e9e377a, v47
	v_fma_f32 v47, -0.5, v33, v2
	v_fma_f32 v50, -0.5, v34, v2
	v_sub_f32_e32 v48, v3, v1
	v_mov_b32_e32 v33, v47
	v_sub_f32_e32 v49, v11, v0
	v_mov_b32_e32 v34, v50
	v_fmac_f32_e32 v33, 0xbf737871, v48
	v_fmac_f32_e32 v34, 0x3f737871, v49
	v_sub_f32_e32 v52, v9, v42
	v_sub_f32_e32 v80, v43, v44
	v_fmac_f32_e32 v33, 0xbf167918, v49
	v_fmac_f32_e32 v34, 0xbf167918, v48
	v_add_f32_e32 v52, v52, v80
	ds_write2_b32 v41, v45, v56 offset1:5
	ds_write2_b32 v41, v57, v72 offset0:10 offset1:15
	ds_write_b32 v41, v46 offset:80
	v_add3_u32 v45, v39, v78, v67
	v_mad_u32_u24 v39, v55, s11, 0
	v_fmac_f32_e32 v33, 0x3e9e377a, v51
	v_fmac_f32_e32 v34, 0x3e9e377a, v52
	v_add3_u32 v46, v39, v74, v67
	v_lshlrev_b32_e32 v39, 2, v53
	ds_write2_b32 v45, v58, v60 offset1:5
	ds_write2_b32 v45, v73, v71 offset0:10 offset1:15
	ds_write_b32 v45, v59 offset:80
	ds_write2_b32 v46, v75, v77 offset1:5
	ds_write2_b32 v46, v79, v70 offset0:10 offset1:15
	ds_write_b32 v46, v76 offset:80
	s_and_saveexec_b64 s[6:7], s[0:1]
	s_cbranch_execz .LBB0_24
; %bb.23:
	v_mul_f32_e32 v54, 0x3f167918, v49
	v_mul_f32_e32 v49, 0x3f737871, v49
	v_mul_f32_e32 v53, 0x3f737871, v48
	v_mul_f32_e32 v48, 0x3f167918, v48
	v_sub_f32_e32 v49, v50, v49
	v_add_f32_e32 v48, v48, v49
	v_add_f32_e32 v2, v2, v42
	v_mul_lo_u16_sdwa v49, v64, s10 dst_sel:DWORD dst_unused:UNUSED_PAD src0_sel:BYTE_0 src1_sel:DWORD
	v_add_f32_e32 v2, v2, v9
	v_lshrrev_b16_e32 v49, 10, v49
	v_add_f32_e32 v47, v47, v53
	v_add_f32_e32 v2, v2, v43
	v_mad_u32_u24 v49, v49, s11, 0
	v_mul_f32_e32 v51, 0x3e9e377a, v51
	v_mul_f32_e32 v52, 0x3e9e377a, v52
	v_add_f32_e32 v47, v54, v47
	v_add_f32_e32 v2, v2, v44
	v_add3_u32 v49, v49, v39, v67
	v_add_f32_e32 v48, v52, v48
	v_add_f32_e32 v47, v51, v47
	ds_write2_b32 v49, v2, v33 offset1:5
	ds_write2_b32 v49, v34, v48 offset0:10 offset1:15
	ds_write_b32 v49, v47 offset:80
.LBB0_24:
	s_or_b64 exec, exec, s[6:7]
	v_add_f32_e32 v2, v27, v10
	v_add_f32_e32 v2, v2, v12
	;; [unrolled: 1-line block ×5, first 2 shown]
	v_fma_f32 v48, -0.5, v2, v27
	v_sub_f32_e32 v2, v28, v30
	v_mov_b32_e32 v49, v48
	v_fmac_f32_e32 v49, 0x3f737871, v2
	v_sub_f32_e32 v23, v23, v29
	v_sub_f32_e32 v28, v10, v12
	;; [unrolled: 1-line block ×3, first 2 shown]
	v_fmac_f32_e32 v48, 0xbf737871, v2
	v_fmac_f32_e32 v49, 0x3f167918, v23
	v_add_f32_e32 v28, v28, v29
	v_fmac_f32_e32 v48, 0xbf167918, v23
	v_fmac_f32_e32 v49, 0x3e9e377a, v28
	;; [unrolled: 1-line block ×3, first 2 shown]
	v_add_f32_e32 v28, v10, v21
	v_fmac_f32_e32 v27, -0.5, v28
	v_mov_b32_e32 v50, v27
	v_fmac_f32_e32 v50, 0xbf737871, v23
	v_fmac_f32_e32 v27, 0x3f737871, v23
	;; [unrolled: 1-line block ×4, first 2 shown]
	v_add_f32_e32 v2, v26, v24
	v_add_f32_e32 v2, v2, v19
	;; [unrolled: 1-line block ×5, first 2 shown]
	v_sub_f32_e32 v10, v12, v10
	v_sub_f32_e32 v12, v18, v21
	v_fma_f32 v52, -0.5, v2, v26
	v_add_f32_e32 v10, v10, v12
	v_sub_f32_e32 v2, v36, v40
	v_mov_b32_e32 v53, v52
	v_fmac_f32_e32 v50, 0x3e9e377a, v10
	v_fmac_f32_e32 v27, 0x3e9e377a, v10
	;; [unrolled: 1-line block ×3, first 2 shown]
	v_sub_f32_e32 v10, v37, v38
	v_sub_f32_e32 v12, v24, v19
	;; [unrolled: 1-line block ×3, first 2 shown]
	v_fmac_f32_e32 v52, 0xbf737871, v2
	v_fmac_f32_e32 v53, 0x3f167918, v10
	v_add_f32_e32 v12, v12, v18
	v_fmac_f32_e32 v52, 0xbf167918, v10
	v_fmac_f32_e32 v53, 0x3e9e377a, v12
	;; [unrolled: 1-line block ×3, first 2 shown]
	v_add_f32_e32 v12, v24, v32
	v_fmac_f32_e32 v26, -0.5, v12
	v_mov_b32_e32 v54, v26
	v_fmac_f32_e32 v54, 0xbf737871, v10
	v_fmac_f32_e32 v26, 0x3f737871, v10
	;; [unrolled: 1-line block ×4, first 2 shown]
	v_add_f32_e32 v2, v25, v14
	v_add_f32_e32 v2, v2, v15
	;; [unrolled: 1-line block ×5, first 2 shown]
	v_sub_f32_e32 v12, v19, v24
	v_sub_f32_e32 v18, v31, v32
	v_fma_f32 v56, -0.5, v2, v25
	v_add_f32_e32 v12, v12, v18
	v_sub_f32_e32 v2, v22, v35
	v_mov_b32_e32 v57, v56
	v_fmac_f32_e32 v54, 0x3e9e377a, v12
	v_fmac_f32_e32 v26, 0x3e9e377a, v12
	;; [unrolled: 1-line block ×3, first 2 shown]
	v_sub_f32_e32 v10, v17, v20
	v_sub_f32_e32 v12, v14, v15
	;; [unrolled: 1-line block ×3, first 2 shown]
	v_fmac_f32_e32 v56, 0xbf737871, v2
	v_fmac_f32_e32 v57, 0x3f167918, v10
	v_add_f32_e32 v12, v12, v17
	v_fmac_f32_e32 v56, 0xbf167918, v10
	v_fmac_f32_e32 v57, 0x3e9e377a, v12
	;; [unrolled: 1-line block ×3, first 2 shown]
	v_add_f32_e32 v12, v14, v16
	v_fmac_f32_e32 v25, -0.5, v12
	v_mov_b32_e32 v58, v25
	v_fmac_f32_e32 v58, 0xbf737871, v10
	v_sub_f32_e32 v12, v15, v14
	v_sub_f32_e32 v13, v13, v16
	v_fmac_f32_e32 v25, 0x3f737871, v10
	v_fmac_f32_e32 v58, 0x3f167918, v2
	v_add_f32_e32 v12, v12, v13
	v_fmac_f32_e32 v25, 0xbf167918, v2
	v_fmac_f32_e32 v58, 0x3e9e377a, v12
	;; [unrolled: 1-line block ×3, first 2 shown]
	v_sub_f32_e32 v12, v42, v44
	v_sub_f32_e32 v42, v9, v43
	;; [unrolled: 1-line block ×4, first 2 shown]
	v_add_f32_e32 v43, v9, v10
	v_add_f32_e32 v9, v3, v1
	v_fma_f32 v38, -0.5, v9, v8
	v_sub_f32_e32 v9, v11, v3
	v_sub_f32_e32 v10, v0, v1
	v_add_u32_e32 v23, 0x200, v65
	v_add_u32_e32 v29, 0x400, v65
	;; [unrolled: 1-line block ×5, first 2 shown]
	v_add_f32_e32 v2, v11, v0
	v_add_f32_e32 v44, v9, v10
	s_waitcnt lgkmcnt(0)
	s_barrier
	ds_read_b32 v30, v66
	ds_read_b32 v32, v69
	ds_read2_b32 v[21:22], v23 offset0:97 offset1:172
	ds_read2_b32 v[19:20], v29 offset0:119 offset1:194
	;; [unrolled: 1-line block ×6, first 2 shown]
	ds_read_b32 v37, v68
	ds_read_b32 v31, v65 offset:4500
	v_fma_f32 v2, -0.5, v2, v8
	v_mov_b32_e32 v35, v2
	v_mov_b32_e32 v36, v38
	v_fmac_f32_e32 v35, 0x3f737871, v12
	v_fmac_f32_e32 v36, 0xbf737871, v42
	;; [unrolled: 1-line block ×6, first 2 shown]
	s_waitcnt lgkmcnt(0)
	s_barrier
	ds_write2_b32 v41, v47, v49 offset1:5
	ds_write2_b32 v41, v50, v27 offset0:10 offset1:15
	ds_write_b32 v41, v48 offset:80
	ds_write2_b32 v45, v51, v53 offset1:5
	ds_write2_b32 v45, v54, v26 offset0:10 offset1:15
	ds_write_b32 v45, v52 offset:80
	;; [unrolled: 3-line block ×3, first 2 shown]
	s_and_saveexec_b64 s[6:7], s[0:1]
	s_cbranch_execz .LBB0_26
; %bb.25:
	v_add_f32_e32 v3, v8, v3
	v_add_f32_e32 v3, v3, v11
	s_movk_i32 s0, 0xcd
	v_add_f32_e32 v0, v3, v0
	v_mul_lo_u16_sdwa v3, v64, s0 dst_sel:DWORD dst_unused:UNUSED_PAD src0_sel:BYTE_0 src1_sel:DWORD
	v_mul_f32_e32 v25, 0x3f737871, v12
	v_mul_f32_e32 v41, 0x3f737871, v42
	v_lshrrev_b16_e32 v3, 10, v3
	s_movk_i32 s0, 0x64
	v_mul_f32_e32 v26, 0x3f167918, v42
	v_mul_f32_e32 v12, 0x3f167918, v12
	v_add_f32_e32 v0, v0, v1
	v_sub_f32_e32 v1, v2, v25
	v_add_f32_e32 v2, v41, v38
	v_mad_u32_u24 v3, v3, s0, 0
	v_mul_f32_e32 v27, 0x3e9e377a, v43
	v_mul_f32_e32 v42, 0x3e9e377a, v44
	v_sub_f32_e32 v1, v1, v26
	v_sub_f32_e32 v2, v2, v12
	v_add3_u32 v3, v3, v39, v67
	v_add_f32_e32 v1, v27, v1
	v_add_f32_e32 v2, v42, v2
	ds_write2_b32 v3, v0, v35 offset1:5
	ds_write2_b32 v3, v36, v2 offset0:10 offset1:15
	ds_write_b32 v3, v1 offset:80
.LBB0_26:
	s_or_b64 exec, exec, s[6:7]
	v_mov_b32_e32 v0, 41
	v_mul_lo_u16_sdwa v0, v61, v0 dst_sel:DWORD dst_unused:UNUSED_PAD src0_sel:BYTE_0 src1_sel:DWORD
	v_lshrrev_b16_e32 v60, 10, v0
	v_mul_lo_u16_e32 v0, 25, v60
	v_sub_u16_e32 v70, v61, v0
	v_mov_b32_e32 v0, 15
	v_mul_u32_u24_sdwa v0, v70, v0 dst_sel:DWORD dst_unused:UNUSED_PAD src0_sel:BYTE_0 src1_sel:DWORD
	v_lshlrev_b32_e32 v71, 3, v0
	s_waitcnt lgkmcnt(0)
	s_barrier
	ds_read_b32 v25, v66
	ds_read_b32 v8, v68
	;; [unrolled: 1-line block ×3, first 2 shown]
	ds_read2_b32 v[26:27], v23 offset0:97 offset1:172
	ds_read2_b32 v[50:51], v29 offset0:119 offset1:194
	;; [unrolled: 1-line block ×6, first 2 shown]
	ds_read_b32 v59, v65 offset:4500
	global_load_dwordx4 v[0:3], v71, s[8:9] offset:208
	global_load_dwordx4 v[38:41], v71, s[8:9] offset:192
	;; [unrolled: 1-line block ×4, first 2 shown]
	s_movk_i32 s0, 0x640
	s_waitcnt vmcnt(3) lgkmcnt(4)
	v_mul_f32_e32 v73, v11, v1
	v_mul_f32_e32 v1, v9, v1
	v_fmac_f32_e32 v73, v9, v0
	s_waitcnt vmcnt(0)
	v_mul_f32_e32 v72, v8, v47
	v_fmac_f32_e32 v72, v37, v46
	v_mul_f32_e32 v37, v37, v47
	v_fma_f32 v8, v8, v46, -v37
	v_mul_f32_e32 v46, v58, v49
	v_mul_f32_e32 v47, v26, v43
	v_fmac_f32_e32 v46, v32, v48
	v_mul_f32_e32 v32, v32, v49
	v_fmac_f32_e32 v47, v21, v42
	v_mul_f32_e32 v21, v21, v43
	v_fma_f32 v32, v58, v48, -v32
	v_fma_f32 v48, v26, v42, -v21
	v_mul_f32_e32 v49, v27, v45
	v_mul_f32_e32 v21, v22, v45
	;; [unrolled: 1-line block ×3, first 2 shown]
	v_fmac_f32_e32 v45, v19, v38
	v_mul_f32_e32 v19, v19, v39
	v_fma_f32 v50, v50, v38, -v19
	v_mul_f32_e32 v58, v51, v41
	v_mul_f32_e32 v19, v20, v41
	v_fmac_f32_e32 v49, v22, v44
	v_fma_f32 v26, v27, v44, -v21
	v_fmac_f32_e32 v58, v20, v40
	v_fma_f32 v51, v51, v40, -v19
	v_fma_f32 v9, v11, v0, -v1
	global_load_dwordx2 v[0:1], v71, s[8:9] offset:272
	global_load_dwordx4 v[19:22], v71, s[8:9] offset:256
	global_load_dwordx4 v[37:40], v71, s[8:9] offset:240
	;; [unrolled: 1-line block ×3, first 2 shown]
	v_mul_f32_e32 v11, v12, v3
	v_fmac_f32_e32 v11, v10, v2
	s_waitcnt vmcnt(0) lgkmcnt(0)
	s_barrier
	v_mul_f32_e32 v71, v52, v42
	v_fmac_f32_e32 v71, v17, v41
	v_mul_f32_e32 v17, v17, v42
	v_fma_f32 v17, v52, v41, -v17
	v_mul_f32_e32 v41, v54, v38
	v_fmac_f32_e32 v41, v15, v37
	v_mul_f32_e32 v15, v15, v38
	v_mul_f32_e32 v38, v56, v20
	v_fmac_f32_e32 v38, v13, v19
	v_mul_f32_e32 v13, v13, v20
	v_mul_f32_e32 v27, v53, v44
	v_fma_f32 v13, v56, v19, -v13
	v_mul_f32_e32 v19, v57, v22
	v_fmac_f32_e32 v27, v18, v43
	v_mul_f32_e32 v18, v18, v44
	v_fmac_f32_e32 v19, v14, v21
	v_mul_f32_e32 v14, v14, v22
	v_fma_f32 v18, v53, v43, -v18
	v_fma_f32 v15, v54, v37, -v15
	v_mul_f32_e32 v37, v55, v40
	v_fma_f32 v14, v57, v21, -v14
	v_mul_f32_e32 v20, v59, v1
	v_sub_f32_e32 v17, v8, v17
	v_sub_f32_e32 v13, v50, v13
	v_fmac_f32_e32 v37, v16, v39
	v_mul_f32_e32 v16, v16, v40
	v_fmac_f32_e32 v20, v31, v0
	v_mul_f32_e32 v1, v31, v1
	v_sub_f32_e32 v31, v46, v27
	v_sub_f32_e32 v18, v32, v18
	;; [unrolled: 1-line block ×3, first 2 shown]
	v_fma_f32 v8, v8, 2.0, -v17
	v_fma_f32 v43, v50, 2.0, -v13
	v_fma_f32 v16, v55, v39, -v16
	v_fma_f32 v27, v32, 2.0, -v18
	v_fma_f32 v32, v51, 2.0, -v14
	v_sub_f32_e32 v39, v72, v71
	v_sub_f32_e32 v38, v45, v38
	;; [unrolled: 1-line block ×4, first 2 shown]
	v_add_f32_e32 v14, v31, v14
	v_sub_f32_e32 v43, v8, v43
	v_fma_f32 v0, v59, v0, -v1
	v_sub_f32_e32 v21, v30, v11
	v_sub_f32_e32 v1, v49, v37
	v_sub_f32_e32 v11, v26, v16
	v_fma_f32 v37, v46, 2.0, -v31
	v_fma_f32 v40, v72, 2.0, -v39
	v_fma_f32 v42, v45, 2.0, -v38
	v_fma_f32 v44, v47, 2.0, -v41
	v_fma_f32 v46, v73, 2.0, -v20
	v_fma_f32 v47, v31, 2.0, -v14
	v_fma_f32 v31, v8, 2.0, -v43
	v_add_f32_e32 v8, v39, v13
	v_fma_f32 v16, v49, 2.0, -v1
	v_sub_f32_e32 v19, v58, v19
	v_sub_f32_e32 v0, v9, v0
	v_add_f32_e32 v49, v21, v11
	v_sub_f32_e32 v52, v40, v42
	v_sub_f32_e32 v13, v17, v38
	v_fma_f32 v38, v39, 2.0, -v8
	v_sub_f32_e32 v39, v44, v46
	v_fma_f32 v22, v30, 2.0, -v21
	v_fma_f32 v30, v58, 2.0, -v19
	;; [unrolled: 1-line block ×5, first 2 shown]
	v_add_f32_e32 v0, v41, v0
	v_mov_b32_e32 v58, v49
	v_sub_f32_e32 v15, v48, v15
	v_fma_f32 v21, v21, 2.0, -v49
	v_sub_f32_e32 v19, v18, v19
	v_fma_f32 v50, v41, 2.0, -v0
	v_fmac_f32_e32 v58, 0x3f3504f3, v14
	v_sub_f32_e32 v41, v40, v42
	v_fma_f32 v45, v48, 2.0, -v15
	v_fma_f32 v18, v18, 2.0, -v19
	v_fma_f32 v17, v17, 2.0, -v13
	v_sub_f32_e32 v20, v15, v20
	v_mov_b32_e32 v56, v21
	v_mul_f32_e32 v48, 0x3f3504f3, v19
	v_fmac_f32_e32 v58, 0x3f3504f3, v19
	v_fma_f32 v19, v40, 2.0, -v41
	v_mov_b32_e32 v40, v38
	v_fma_f32 v15, v15, 2.0, -v20
	v_fmac_f32_e32 v56, 0xbf3504f3, v47
	v_fmac_f32_e32 v40, 0xbf3504f3, v50
	v_mov_b32_e32 v42, v17
	v_sub_f32_e32 v16, v22, v16
	v_sub_f32_e32 v32, v27, v32
	;; [unrolled: 1-line block ×3, first 2 shown]
	v_fmac_f32_e32 v56, 0x3f3504f3, v18
	v_fmac_f32_e32 v42, 0xbf3504f3, v15
	;; [unrolled: 1-line block ×3, first 2 shown]
	v_sub_f32_e32 v15, v43, v39
	v_fma_f32 v45, v45, 2.0, -v9
	v_mul_f32_e32 v46, 0x3f3504f3, v18
	v_fma_f32 v18, v21, 2.0, -v56
	v_add_f32_e32 v21, v16, v32
	v_fmac_f32_e32 v42, 0xbf3504f3, v50
	v_fma_f32 v50, v38, 2.0, -v40
	v_fma_f32 v38, v43, 2.0, -v15
	v_mov_b32_e32 v43, v8
	v_fma_f32 v22, v22, 2.0, -v16
	v_sub_f32_e32 v30, v37, v30
	v_mul_f32_e32 v44, 0x3f3504f3, v47
	v_fma_f32 v16, v16, 2.0, -v21
	v_mul_f32_e32 v47, 0x3f3504f3, v14
	v_fma_f32 v14, v49, 2.0, -v58
	v_sub_f32_e32 v49, v31, v45
	v_add_f32_e32 v9, v52, v9
	v_fmac_f32_e32 v43, 0x3f3504f3, v0
	v_mov_b32_e32 v45, v13
	v_fma_f32 v37, v37, 2.0, -v30
	v_fma_f32 v51, v17, 2.0, -v42
	;; [unrolled: 1-line block ×3, first 2 shown]
	v_fmac_f32_e32 v45, 0x3f3504f3, v20
	v_fmac_f32_e32 v43, 0x3f3504f3, v20
	v_mov_b32_e32 v20, v16
	v_sub_f32_e32 v37, v22, v37
	v_fmac_f32_e32 v45, 0xbf3504f3, v0
	v_fmac_f32_e32 v20, 0xbf3504f3, v17
	v_mov_b32_e32 v0, v58
	v_fma_f32 v22, v22, 2.0, -v37
	v_mul_f32_e32 v55, 0x3f3504f3, v38
	v_fmac_f32_e32 v20, 0x3f3504f3, v38
	v_mov_b32_e32 v38, v56
	v_mov_b32_e32 v59, v21
	v_fmac_f32_e32 v0, 0x3f6c835e, v43
	v_fma_f32 v52, v8, 2.0, -v43
	v_sub_f32_e32 v8, v22, v19
	v_mov_b32_e32 v19, v18
	v_fmac_f32_e32 v38, 0x3ec3ef15, v40
	v_fmac_f32_e32 v59, 0x3f3504f3, v9
	;; [unrolled: 1-line block ×4, first 2 shown]
	v_mul_f32_e32 v54, 0x3f3504f3, v17
	v_mov_b32_e32 v17, v14
	v_fmac_f32_e32 v38, 0x3f6c835e, v42
	v_mul_f32_e32 v57, 0x3f3504f3, v15
	v_fmac_f32_e32 v59, 0x3f3504f3, v15
	v_fma_f32 v15, v58, 2.0, -v0
	v_mov_b32_e32 v58, 2
	v_fma_f32 v53, v13, 2.0, -v45
	v_fmac_f32_e32 v19, 0x3ec3ef15, v51
	v_fmac_f32_e32 v17, 0xbec3ef15, v52
	v_fma_f32 v39, v56, 2.0, -v38
	v_mul_f32_e32 v56, 0x3f3504f3, v9
	v_fma_f32 v9, v21, 2.0, -v59
	v_mad_u32_u24 v21, v60, s0, 0
	v_lshlrev_b32_sdwa v58, v58, v70 dst_sel:DWORD dst_unused:UNUSED_PAD src0_sel:DWORD src1_sel:BYTE_0
	v_fma_f32 v13, v22, 2.0, -v8
	v_fma_f32 v18, v18, 2.0, -v19
	v_fmac_f32_e32 v17, 0x3f6c835e, v53
	v_add_f32_e32 v22, v37, v49
	v_add3_u32 v58, v21, v58, v67
	v_fma_f32 v16, v16, 2.0, -v20
	v_fma_f32 v14, v14, 2.0, -v17
	v_fma_f32 v37, v37, 2.0, -v22
	ds_write2_b32 v58, v13, v18 offset1:25
	ds_write2_b32 v58, v16, v14 offset0:50 offset1:75
	ds_write2_b32 v58, v37, v39 offset0:100 offset1:125
	;; [unrolled: 1-line block ×4, first 2 shown]
	v_add_u32_e32 v8, 0x200, v58
	ds_write2_b32 v8, v20, v17 offset0:122 offset1:147
	v_add_u32_e32 v8, 0x400, v58
	ds_write2_b32 v8, v22, v38 offset0:44 offset1:69
	ds_write2_b32 v8, v59, v0 offset0:94 offset1:119
	s_waitcnt lgkmcnt(0)
	s_barrier
	ds_read_b32 v37, v66
	ds_read2_b32 v[13:14], v29 offset0:144 offset1:219
	v_add_u32_e32 v29, 0xa00, v65
	ds_read2_b32 v[8:9], v29 offset0:60 offset1:160
	ds_read_b32 v38, v68
	ds_read2_b32 v[15:16], v28 offset0:107 offset1:182
	ds_read_b32 v39, v69
	ds_read2_b32 v[17:18], v24 offset0:38 offset1:113
	ds_read2_b32 v[19:20], v23 offset0:97 offset1:172
	v_add_u32_e32 v59, 0x1000, v65
	ds_read2_b32 v[21:22], v59 offset0:1 offset1:76
	v_cmp_gt_u32_e64 s[0:1], 25, v61
	s_and_saveexec_b64 s[6:7], s[0:1]
	s_cbranch_execz .LBB0_28
; %bb.27:
	ds_read_b32 v0, v65 offset:1500
	ds_read_b32 v33, v65 offset:3100
	ds_read_b32 v34, v65 offset:4700
.LBB0_28:
	s_or_b64 exec, exec, s[6:7]
	v_mul_f32_e32 v3, v10, v3
	v_fma_f32 v2, v12, v2, -v3
	v_sub_f32_e32 v2, v25, v2
	v_sub_f32_e32 v1, v2, v1
	v_add_f32_e32 v24, v1, v48
	v_sub_f32_e32 v24, v24, v47
	v_fma_f32 v3, v25, 2.0, -v2
	v_fma_f32 v2, v2, 2.0, -v1
	;; [unrolled: 1-line block ×4, first 2 shown]
	v_sub_f32_e32 v12, v2, v46
	v_mov_b32_e32 v28, v1
	v_sub_f32_e32 v10, v3, v10
	v_sub_f32_e32 v12, v12, v44
	v_fmac_f32_e32 v28, 0xbec3ef15, v53
	v_fma_f32 v3, v3, 2.0, -v10
	v_fma_f32 v11, v27, 2.0, -v32
	;; [unrolled: 1-line block ×3, first 2 shown]
	v_sub_f32_e32 v23, v10, v30
	v_fmac_f32_e32 v28, 0xbf6c835e, v52
	v_mov_b32_e32 v32, v12
	v_sub_f32_e32 v11, v3, v11
	v_mov_b32_e32 v26, v2
	v_fma_f32 v30, v1, 2.0, -v28
	v_fmac_f32_e32 v32, 0x3ec3ef15, v42
	v_add_f32_e32 v1, v23, v57
	v_fma_f32 v3, v3, 2.0, -v11
	v_fma_f32 v10, v10, 2.0, -v23
	v_fma_f32 v25, v31, 2.0, -v49
	v_fmac_f32_e32 v26, 0xbf6c835e, v51
	v_fmac_f32_e32 v32, 0xbf6c835e, v40
	v_sub_f32_e32 v40, v1, v56
	v_mov_b32_e32 v1, v24
	v_sub_f32_e32 v25, v3, v25
	v_fmac_f32_e32 v26, 0xbec3ef15, v50
	v_sub_f32_e32 v27, v10, v55
	v_fmac_f32_e32 v1, 0x3f6c835e, v45
	v_fma_f32 v3, v3, 2.0, -v25
	v_fma_f32 v2, v2, 2.0, -v26
	v_sub_f32_e32 v27, v27, v54
	v_sub_f32_e32 v31, v11, v41
	v_fmac_f32_e32 v1, 0xbec3ef15, v43
	v_fma_f32 v10, v10, 2.0, -v27
	v_fma_f32 v11, v11, 2.0, -v31
	v_fma_f32 v12, v12, 2.0, -v32
	v_fma_f32 v23, v23, 2.0, -v40
	v_fma_f32 v24, v24, 2.0, -v1
	s_waitcnt lgkmcnt(0)
	s_barrier
	ds_write2_b32 v58, v3, v2 offset1:25
	ds_write2_b32 v58, v10, v30 offset0:50 offset1:75
	ds_write2_b32 v58, v11, v12 offset0:100 offset1:125
	;; [unrolled: 1-line block ×4, first 2 shown]
	v_add_u32_e32 v2, 0x200, v58
	ds_write2_b32 v2, v27, v28 offset0:122 offset1:147
	v_add_u32_e32 v2, 0x400, v58
	ds_write2_b32 v2, v31, v32 offset0:44 offset1:69
	ds_write2_b32 v2, v40, v1 offset0:94 offset1:119
	v_add_u32_e32 v2, 0x400, v65
	s_waitcnt lgkmcnt(0)
	s_barrier
	ds_read2_b32 v[23:24], v2 offset0:144 offset1:219
	ds_read2_b32 v[10:11], v29 offset0:60 offset1:160
	v_add_u32_e32 v2, 0xc00, v65
	ds_read2_b32 v[25:26], v2 offset0:107 offset1:182
	ds_read_b32 v12, v66
	ds_read_b32 v40, v68
	;; [unrolled: 1-line block ×3, first 2 shown]
	v_add_u32_e32 v2, 0x800, v65
	ds_read2_b32 v[27:28], v2 offset0:38 offset1:113
	v_add_u32_e32 v2, 0x200, v65
	ds_read2_b32 v[29:30], v2 offset0:97 offset1:172
	ds_read2_b32 v[31:32], v59 offset0:1 offset1:76
	s_and_saveexec_b64 s[6:7], s[0:1]
	s_cbranch_execz .LBB0_30
; %bb.29:
	ds_read_b32 v1, v65 offset:1500
	ds_read_b32 v35, v65 offset:3100
	ds_read_b32 v36, v65 offset:4700
.LBB0_30:
	s_or_b64 exec, exec, s[6:7]
	s_and_saveexec_b64 s[6:7], vcc
	s_cbranch_execz .LBB0_33
; %bb.31:
	v_lshlrev_b32_e32 v58, 1, v61
	v_add_u32_e32 v2, 0x258, v58
	v_mov_b32_e32 v3, 0
	v_lshlrev_b64 v[42:43], 3, v[2:3]
	v_lshlrev_b32_e32 v2, 1, v64
	v_mov_b32_e32 v60, s9
	v_add_co_u32_e32 v42, vcc, s8, v42
	v_lshlrev_b64 v[46:47], 3, v[2:3]
	v_addc_co_u32_e32 v43, vcc, v60, v43, vcc
	v_add_co_u32_e32 v46, vcc, s8, v46
	v_lshlrev_b32_e32 v2, 1, v63
	global_load_dwordx4 v[42:45], v[42:43], off offset:3160
	v_addc_co_u32_e32 v47, vcc, v60, v47, vcc
	global_load_dwordx4 v[46:49], v[46:47], off offset:3160
	v_lshlrev_b64 v[50:51], 3, v[2:3]
	v_lshlrev_b32_e32 v2, 1, v62
	v_add_co_u32_e32 v50, vcc, s8, v50
	v_addc_co_u32_e32 v51, vcc, v60, v51, vcc
	global_load_dwordx4 v[50:53], v[50:51], off offset:3160
	v_lshlrev_b64 v[54:55], 3, v[2:3]
	v_mov_b32_e32 v59, v3
	v_add_co_u32_e32 v54, vcc, s8, v54
	v_addc_co_u32_e32 v55, vcc, v60, v55, vcc
	global_load_dwordx4 v[54:57], v[54:55], off offset:3160
	v_mul_lo_u32 v63, s5, v6
	v_mul_lo_u32 v64, s4, v7
	v_mad_u64_u32 v[6:7], s[4:5], s4, v6, 0
	v_lshlrev_b64 v[58:59], 3, v[58:59]
	s_mov_b32 s5, 0x51eb851f
	v_add_co_u32_e32 v58, vcc, s8, v58
	v_addc_co_u32_e32 v59, vcc, v60, v59, vcc
	v_add3_u32 v7, v7, v64, v63
	global_load_dwordx4 v[62:65], v[58:59], off offset:3160
	v_lshlrev_b64 v[6:7], 3, v[6:7]
	v_lshlrev_b64 v[4:5], 3, v[4:5]
	s_movk_i32 s10, 0x4b0
	s_movk_i32 s4, 0x190
	s_waitcnt vmcnt(4)
	v_mul_f32_e32 v2, v8, v43
	v_mul_f32_e32 v58, v22, v45
	s_waitcnt lgkmcnt(7)
	v_mul_f32_e32 v43, v10, v43
	s_waitcnt lgkmcnt(0)
	v_mul_f32_e32 v45, v32, v45
	v_fma_f32 v2, v10, v42, -v2
	v_fma_f32 v10, v32, v44, -v58
	v_fmac_f32_e32 v43, v8, v42
	v_fmac_f32_e32 v45, v22, v44
	s_waitcnt vmcnt(3)
	v_mul_f32_e32 v8, v18, v47
	v_mul_f32_e32 v22, v21, v49
	;; [unrolled: 1-line block ×4, first 2 shown]
	v_add_f32_e32 v42, v2, v10
	v_sub_f32_e32 v58, v2, v10
	v_add_f32_e32 v2, v30, v2
	v_fma_f32 v8, v28, v46, -v8
	v_fma_f32 v22, v31, v48, -v22
	v_fmac_f32_e32 v32, v18, v46
	v_fmac_f32_e32 v44, v21, v48
	v_add_f32_e32 v31, v2, v10
	v_add_f32_e32 v2, v8, v22
	;; [unrolled: 1-line block ×3, first 2 shown]
	v_sub_f32_e32 v48, v8, v22
	v_add_f32_e32 v8, v29, v8
	v_sub_f32_e32 v47, v43, v45
	v_add_f32_e32 v49, v43, v45
	v_add_f32_e32 v43, v20, v43
	s_waitcnt vmcnt(2)
	v_mul_f32_e32 v46, v17, v51
	v_sub_f32_e32 v10, v32, v44
	v_add_f32_e32 v32, v19, v32
	v_fma_f32 v29, -0.5, v2, v29
	v_fma_f32 v28, -0.5, v18, v19
	v_add_f32_e32 v19, v8, v22
	v_mul_f32_e32 v8, v16, v53
	v_fma_f32 v21, -0.5, v42, v30
	v_add_f32_e32 v30, v43, v45
	v_mov_b32_e32 v45, v29
	v_fma_f32 v2, v27, v50, -v46
	v_fma_f32 v8, v26, v52, -v8
	v_mov_b32_e32 v43, v21
	v_fmac_f32_e32 v29, 0x3f5db3d7, v10
	v_fmac_f32_e32 v45, 0xbf5db3d7, v10
	v_add_f32_e32 v10, v2, v8
	v_fmac_f32_e32 v21, 0x3f5db3d7, v47
	v_fmac_f32_e32 v43, 0xbf5db3d7, v47
	v_fma_f32 v47, -0.5, v10, v41
	v_mul_f32_e32 v10, v27, v51
	v_mul_f32_e32 v22, v26, v53
	v_fmac_f32_e32 v10, v17, v50
	v_fmac_f32_e32 v22, v16, v52
	v_add_f32_e32 v16, v10, v22
	v_fma_f32 v46, -0.5, v16, v39
	v_sub_f32_e32 v27, v2, v8
	v_mov_b32_e32 v16, v46
	v_add_f32_e32 v2, v41, v2
	v_sub_f32_e32 v26, v10, v22
	v_mov_b32_e32 v17, v47
	v_fmac_f32_e32 v16, 0x3f5db3d7, v27
	v_fmac_f32_e32 v46, 0xbf5db3d7, v27
	v_add_f32_e32 v27, v2, v8
	v_add_f32_e32 v2, v39, v10
	v_fmac_f32_e32 v17, 0xbf5db3d7, v26
	v_fmac_f32_e32 v47, 0x3f5db3d7, v26
	v_add_f32_e32 v26, v2, v22
	s_waitcnt vmcnt(1)
	v_mul_f32_e32 v2, v14, v55
	v_mul_f32_e32 v8, v15, v57
	v_fma_f32 v2, v24, v54, -v2
	v_fma_f32 v8, v25, v56, -v8
	v_add_f32_e32 v10, v2, v8
	v_fma_f32 v20, -0.5, v49, v20
	v_fma_f32 v49, -0.5, v10, v40
	v_mul_f32_e32 v10, v24, v55
	v_mul_f32_e32 v22, v25, v57
	v_fmac_f32_e32 v10, v14, v54
	v_fmac_f32_e32 v22, v15, v56
	v_add_f32_e32 v18, v32, v44
	v_mov_b32_e32 v44, v28
	v_add_f32_e32 v14, v10, v22
	v_fmac_f32_e32 v28, 0xbf5db3d7, v48
	v_fmac_f32_e32 v44, 0x3f5db3d7, v48
	v_fma_f32 v48, -0.5, v14, v38
	v_sub_f32_e32 v25, v2, v8
	v_mov_b32_e32 v14, v48
	v_add_f32_e32 v2, v40, v2
	v_sub_f32_e32 v24, v10, v22
	v_mov_b32_e32 v15, v49
	v_fmac_f32_e32 v14, 0x3f5db3d7, v25
	v_fmac_f32_e32 v48, 0xbf5db3d7, v25
	v_add_f32_e32 v25, v2, v8
	v_add_f32_e32 v2, v38, v10
	v_fmac_f32_e32 v15, 0xbf5db3d7, v24
	v_fmac_f32_e32 v49, 0x3f5db3d7, v24
	v_add_f32_e32 v24, v2, v22
	s_waitcnt vmcnt(0)
	v_mul_f32_e32 v2, v13, v63
	v_mul_f32_e32 v8, v9, v65
	v_fma_f32 v2, v23, v62, -v2
	v_fma_f32 v8, v11, v64, -v8
	v_mul_hi_u32 v38, v61, s5
	v_add_f32_e32 v10, v2, v8
	v_mul_f32_e32 v32, v23, v63
	v_mul_f32_e32 v11, v11, v65
	v_fma_f32 v10, -0.5, v10, v12
	v_fmac_f32_e32 v32, v13, v62
	v_fmac_f32_e32 v11, v9, v64
	v_sub_f32_e32 v13, v32, v11
	v_mov_b32_e32 v23, v10
	v_fmac_f32_e32 v23, 0xbf5db3d7, v13
	v_fmac_f32_e32 v10, 0x3f5db3d7, v13
	v_lshrrev_b32_e32 v13, 7, v38
	v_mul_u32_u24_e32 v13, 0x190, v13
	v_sub_u32_e32 v13, v61, v13
	v_mad_u64_u32 v[38:39], s[6:7], s2, v13, 0
	v_add_f32_e32 v9, v32, v11
	v_fma_f32 v9, -0.5, v9, v37
	v_sub_f32_e32 v40, v2, v8
	v_add_f32_e32 v2, v12, v2
	v_mov_b32_e32 v22, v9
	v_add_f32_e32 v12, v2, v8
	v_mov_b32_e32 v2, v39
	v_fmac_f32_e32 v22, 0x3f5db3d7, v40
	v_fmac_f32_e32 v9, 0xbf5db3d7, v40
	v_mad_u64_u32 v[39:40], s[6:7], s3, v13, v[2:3]
	v_add_f32_e32 v2, v37, v32
	v_add_f32_e32 v11, v2, v11
	v_mov_b32_e32 v2, s15
	v_add_co_u32_e32 v8, vcc, s14, v6
	v_add_u32_e32 v32, 0x190, v13
	v_addc_co_u32_e32 v2, vcc, v2, v7, vcc
	v_mad_u64_u32 v[6:7], s[6:7], s2, v32, 0
	v_add_co_u32_e32 v4, vcc, v8, v4
	v_lshlrev_b64 v[37:38], 3, v[38:39]
	v_addc_co_u32_e32 v5, vcc, v2, v5, vcc
	v_mov_b32_e32 v2, v7
	v_mad_u64_u32 v[7:8], s[6:7], s3, v32, v[2:3]
	v_add_co_u32_e32 v37, vcc, v4, v37
	v_addc_co_u32_e32 v38, vcc, v5, v38, vcc
	v_add_u32_e32 v8, 0x320, v13
	global_store_dwordx2 v[37:38], v[11:12], off
	v_mad_u64_u32 v[11:12], s[6:7], s2, v8, 0
	v_lshlrev_b64 v[6:7], 3, v[6:7]
	v_mov_b32_e32 v42, v20
	v_mov_b32_e32 v2, v12
	v_mad_u64_u32 v[12:13], s[6:7], s3, v8, v[2:3]
	v_add_u32_e32 v2, 0x4b, v61
	v_mul_hi_u32 v8, v2, s5
	v_add_co_u32_e32 v6, vcc, v4, v6
	v_addc_co_u32_e32 v7, vcc, v5, v7, vcc
	v_lshrrev_b32_e32 v8, 7, v8
	global_store_dwordx2 v[6:7], v[9:10], off
	v_mul_u32_u24_e32 v9, 0x190, v8
	v_sub_u32_e32 v2, v2, v9
	v_lshlrev_b64 v[6:7], 3, v[11:12]
	v_mad_u32_u24 v12, v8, s10, v2
	v_mad_u64_u32 v[8:9], s[6:7], s2, v12, 0
	v_add_u32_e32 v13, 0x190, v12
	v_add_co_u32_e32 v6, vcc, v4, v6
	v_mov_b32_e32 v2, v9
	v_mad_u64_u32 v[9:10], s[6:7], s3, v12, v[2:3]
	v_mad_u64_u32 v[10:11], s[6:7], s2, v13, 0
	v_addc_co_u32_e32 v7, vcc, v5, v7, vcc
	v_mov_b32_e32 v2, v11
	global_store_dwordx2 v[6:7], v[22:23], off
	v_lshlrev_b64 v[6:7], 3, v[8:9]
	v_mad_u64_u32 v[8:9], s[6:7], s3, v13, v[2:3]
	v_add_co_u32_e32 v6, vcc, v4, v6
	v_addc_co_u32_e32 v7, vcc, v5, v7, vcc
	v_mov_b32_e32 v11, v8
	global_store_dwordx2 v[6:7], v[24:25], off
	v_lshlrev_b64 v[6:7], 3, v[10:11]
	v_add_u32_e32 v10, 0x320, v12
	v_mad_u64_u32 v[8:9], s[6:7], s2, v10, 0
	v_add_co_u32_e32 v6, vcc, v4, v6
	v_mov_b32_e32 v2, v9
	v_mad_u64_u32 v[9:10], s[6:7], s3, v10, v[2:3]
	v_add_u32_e32 v2, 0x96, v61
	v_mul_hi_u32 v10, v2, s5
	v_addc_co_u32_e32 v7, vcc, v5, v7, vcc
	global_store_dwordx2 v[6:7], v[48:49], off
	v_lshlrev_b64 v[6:7], 3, v[8:9]
	v_lshrrev_b32_e32 v8, 7, v10
	v_mul_u32_u24_e32 v9, 0x190, v8
	v_sub_u32_e32 v2, v2, v9
	v_mad_u32_u24 v12, v8, s10, v2
	v_mad_u64_u32 v[8:9], s[6:7], s2, v12, 0
	v_add_u32_e32 v13, 0x190, v12
	v_add_co_u32_e32 v6, vcc, v4, v6
	v_mov_b32_e32 v2, v9
	v_mad_u64_u32 v[9:10], s[6:7], s3, v12, v[2:3]
	v_mad_u64_u32 v[10:11], s[6:7], s2, v13, 0
	v_addc_co_u32_e32 v7, vcc, v5, v7, vcc
	v_mov_b32_e32 v2, v11
	global_store_dwordx2 v[6:7], v[14:15], off
	v_lshlrev_b64 v[6:7], 3, v[8:9]
	v_mad_u64_u32 v[8:9], s[6:7], s3, v13, v[2:3]
	v_add_co_u32_e32 v6, vcc, v4, v6
	v_addc_co_u32_e32 v7, vcc, v5, v7, vcc
	v_mov_b32_e32 v11, v8
	global_store_dwordx2 v[6:7], v[26:27], off
	v_lshlrev_b64 v[6:7], 3, v[10:11]
	v_add_u32_e32 v10, 0x320, v12
	v_mad_u64_u32 v[8:9], s[6:7], s2, v10, 0
	v_add_co_u32_e32 v6, vcc, v4, v6
	v_mov_b32_e32 v2, v9
	v_mad_u64_u32 v[9:10], s[6:7], s3, v10, v[2:3]
	v_add_u32_e32 v2, 0xe1, v61
	v_mul_hi_u32 v10, v2, s5
	v_addc_co_u32_e32 v7, vcc, v5, v7, vcc
	global_store_dwordx2 v[6:7], v[46:47], off
	v_lshlrev_b64 v[6:7], 3, v[8:9]
	v_lshrrev_b32_e32 v8, 7, v10
	v_mul_u32_u24_e32 v9, 0x190, v8
	v_sub_u32_e32 v2, v2, v9
	v_mad_u32_u24 v12, v8, s10, v2
	v_mad_u64_u32 v[8:9], s[6:7], s2, v12, 0
	v_add_u32_e32 v13, 0x190, v12
	v_add_co_u32_e32 v6, vcc, v4, v6
	v_mov_b32_e32 v2, v9
	v_mad_u64_u32 v[9:10], s[6:7], s3, v12, v[2:3]
	v_mad_u64_u32 v[10:11], s[6:7], s2, v13, 0
	v_addc_co_u32_e32 v7, vcc, v5, v7, vcc
	v_mov_b32_e32 v2, v11
	global_store_dwordx2 v[6:7], v[16:17], off
	v_lshlrev_b64 v[6:7], 3, v[8:9]
	v_mad_u64_u32 v[8:9], s[6:7], s3, v13, v[2:3]
	v_add_co_u32_e32 v6, vcc, v4, v6
	v_addc_co_u32_e32 v7, vcc, v5, v7, vcc
	v_mov_b32_e32 v11, v8
	global_store_dwordx2 v[6:7], v[18:19], off
	v_lshlrev_b64 v[6:7], 3, v[10:11]
	v_add_u32_e32 v10, 0x320, v12
	v_mad_u64_u32 v[8:9], s[6:7], s2, v10, 0
	v_add_u32_e32 v11, 0x12c, v61
	v_mul_hi_u32 v12, v11, s5
	v_mov_b32_e32 v2, v9
	v_mad_u64_u32 v[9:10], s[6:7], s3, v10, v[2:3]
	v_lshrrev_b32_e32 v2, 7, v12
	v_mul_u32_u24_e32 v10, 0x190, v2
	v_sub_u32_e32 v10, v11, v10
	v_mad_u32_u24 v12, v2, s10, v10
	v_mad_u64_u32 v[10:11], s[6:7], s2, v12, 0
	v_add_co_u32_e32 v6, vcc, v4, v6
	v_addc_co_u32_e32 v7, vcc, v5, v7, vcc
	v_mov_b32_e32 v2, v11
	global_store_dwordx2 v[6:7], v[28:29], off
	v_lshlrev_b64 v[6:7], 3, v[8:9]
	v_mad_u64_u32 v[8:9], s[6:7], s3, v12, v[2:3]
	v_add_co_u32_e32 v6, vcc, v4, v6
	v_addc_co_u32_e32 v7, vcc, v5, v7, vcc
	v_mov_b32_e32 v11, v8
	global_store_dwordx2 v[6:7], v[44:45], off
	v_lshlrev_b64 v[6:7], 3, v[10:11]
	v_add_u32_e32 v10, 0x190, v12
	v_mad_u64_u32 v[8:9], s[6:7], s2, v10, 0
	v_add_u32_e32 v12, 0x320, v12
	v_add_co_u32_e32 v6, vcc, v4, v6
	v_mov_b32_e32 v2, v9
	v_mad_u64_u32 v[9:10], s[6:7], s3, v10, v[2:3]
	v_mad_u64_u32 v[10:11], s[6:7], s2, v12, 0
	v_addc_co_u32_e32 v7, vcc, v5, v7, vcc
	v_mov_b32_e32 v2, v11
	global_store_dwordx2 v[6:7], v[30:31], off
	v_lshlrev_b64 v[6:7], 3, v[8:9]
	v_mad_u64_u32 v[8:9], s[6:7], s3, v12, v[2:3]
	v_add_co_u32_e32 v6, vcc, v4, v6
	v_fmac_f32_e32 v20, 0xbf5db3d7, v58
	v_addc_co_u32_e32 v7, vcc, v5, v7, vcc
	v_mov_b32_e32 v11, v8
	global_store_dwordx2 v[6:7], v[20:21], off
	v_lshlrev_b64 v[6:7], 3, v[10:11]
	v_fmac_f32_e32 v42, 0x3f5db3d7, v58
	v_add_co_u32_e32 v6, vcc, v4, v6
	v_addc_co_u32_e32 v7, vcc, v5, v7, vcc
	global_store_dwordx2 v[6:7], v[42:43], off
	v_add_u32_e32 v6, 0x177, v61
	v_cmp_gt_u32_e32 vcc, s4, v6
	s_and_b64 exec, exec, vcc
	s_cbranch_execz .LBB0_33
; %bb.32:
	v_not_b32_e32 v2, 24
	v_mov_b32_e32 v7, 0x177
	v_cndmask_b32_e64 v2, v2, v7, s[0:1]
	v_add_lshl_u32 v2, v61, v2, 1
	v_lshlrev_b64 v[2:3], 3, v[2:3]
	v_mov_b32_e32 v7, s9
	v_add_co_u32_e32 v2, vcc, s8, v2
	v_addc_co_u32_e32 v3, vcc, v7, v3, vcc
	global_load_dwordx4 v[7:10], v[2:3], off offset:3160
	v_mad_u64_u32 v[2:3], s[0:1], s2, v6, 0
	v_add_u32_e32 v17, 0x307, v61
	v_mad_u64_u32 v[11:12], s[0:1], s2, v17, 0
	v_add_u32_e32 v18, 0x497, v61
	v_mad_u64_u32 v[13:14], s[0:1], s2, v18, 0
	v_mad_u64_u32 v[15:16], s[0:1], s3, v6, v[3:4]
	v_mov_b32_e32 v3, v12
	v_mad_u64_u32 v[16:17], s[0:1], s3, v17, v[3:4]
	v_mov_b32_e32 v6, v14
	v_mov_b32_e32 v3, v15
	v_lshlrev_b64 v[2:3], 3, v[2:3]
	v_mov_b32_e32 v12, v16
	v_lshlrev_b64 v[11:12], 3, v[11:12]
	v_add_co_u32_e32 v2, vcc, v4, v2
	v_addc_co_u32_e32 v3, vcc, v5, v3, vcc
	v_add_co_u32_e32 v11, vcc, v4, v11
	v_addc_co_u32_e32 v12, vcc, v5, v12, vcc
	s_waitcnt vmcnt(0)
	v_mad_u64_u32 v[17:18], s[0:1], s3, v18, v[6:7]
	v_mul_f32_e32 v6, v35, v8
	v_mul_f32_e32 v8, v33, v8
	v_mov_b32_e32 v14, v17
	v_lshlrev_b64 v[13:14], 3, v[13:14]
	v_fmac_f32_e32 v6, v33, v7
	v_add_co_u32_e32 v4, vcc, v4, v13
	v_mul_f32_e32 v13, v36, v10
	v_mul_f32_e32 v10, v34, v10
	v_fma_f32 v7, v35, v7, -v8
	v_fmac_f32_e32 v13, v34, v9
	v_fma_f32 v8, v36, v9, -v10
	v_add_f32_e32 v10, v6, v13
	v_add_f32_e32 v16, v7, v8
	;; [unrolled: 1-line block ×4, first 2 shown]
	v_fmac_f32_e32 v0, -0.5, v10
	v_fmac_f32_e32 v1, -0.5, v16
	v_addc_co_u32_e32 v5, vcc, v5, v14, vcc
	v_sub_f32_e32 v14, v7, v8
	v_sub_f32_e32 v17, v6, v13
	v_add_f32_e32 v6, v9, v13
	v_add_f32_e32 v7, v15, v8
	v_mov_b32_e32 v8, v0
	v_mov_b32_e32 v9, v1
	v_fmac_f32_e32 v8, 0xbf5db3d7, v14
	v_fmac_f32_e32 v9, 0x3f5db3d7, v17
	;; [unrolled: 1-line block ×4, first 2 shown]
	global_store_dwordx2 v[2:3], v[6:7], off
	global_store_dwordx2 v[11:12], v[8:9], off
	;; [unrolled: 1-line block ×3, first 2 shown]
.LBB0_33:
	s_endpgm
	.section	.rodata,"a",@progbits
	.p2align	6, 0x0
	.amdhsa_kernel fft_rtc_back_len1200_factors_5_5_16_3_wgs_225_tpt_75_halfLds_sp_op_CI_CI_sbrr_dirReg
		.amdhsa_group_segment_fixed_size 0
		.amdhsa_private_segment_fixed_size 0
		.amdhsa_kernarg_size 104
		.amdhsa_user_sgpr_count 6
		.amdhsa_user_sgpr_private_segment_buffer 1
		.amdhsa_user_sgpr_dispatch_ptr 0
		.amdhsa_user_sgpr_queue_ptr 0
		.amdhsa_user_sgpr_kernarg_segment_ptr 1
		.amdhsa_user_sgpr_dispatch_id 0
		.amdhsa_user_sgpr_flat_scratch_init 0
		.amdhsa_user_sgpr_private_segment_size 0
		.amdhsa_uses_dynamic_stack 0
		.amdhsa_system_sgpr_private_segment_wavefront_offset 0
		.amdhsa_system_sgpr_workgroup_id_x 1
		.amdhsa_system_sgpr_workgroup_id_y 0
		.amdhsa_system_sgpr_workgroup_id_z 0
		.amdhsa_system_sgpr_workgroup_info 0
		.amdhsa_system_vgpr_workitem_id 0
		.amdhsa_next_free_vgpr 81
		.amdhsa_next_free_sgpr 32
		.amdhsa_reserve_vcc 1
		.amdhsa_reserve_flat_scratch 0
		.amdhsa_float_round_mode_32 0
		.amdhsa_float_round_mode_16_64 0
		.amdhsa_float_denorm_mode_32 3
		.amdhsa_float_denorm_mode_16_64 3
		.amdhsa_dx10_clamp 1
		.amdhsa_ieee_mode 1
		.amdhsa_fp16_overflow 0
		.amdhsa_exception_fp_ieee_invalid_op 0
		.amdhsa_exception_fp_denorm_src 0
		.amdhsa_exception_fp_ieee_div_zero 0
		.amdhsa_exception_fp_ieee_overflow 0
		.amdhsa_exception_fp_ieee_underflow 0
		.amdhsa_exception_fp_ieee_inexact 0
		.amdhsa_exception_int_div_zero 0
	.end_amdhsa_kernel
	.text
.Lfunc_end0:
	.size	fft_rtc_back_len1200_factors_5_5_16_3_wgs_225_tpt_75_halfLds_sp_op_CI_CI_sbrr_dirReg, .Lfunc_end0-fft_rtc_back_len1200_factors_5_5_16_3_wgs_225_tpt_75_halfLds_sp_op_CI_CI_sbrr_dirReg
                                        ; -- End function
	.section	.AMDGPU.csdata,"",@progbits
; Kernel info:
; codeLenInByte = 11564
; NumSgprs: 36
; NumVgprs: 81
; ScratchSize: 0
; MemoryBound: 0
; FloatMode: 240
; IeeeMode: 1
; LDSByteSize: 0 bytes/workgroup (compile time only)
; SGPRBlocks: 4
; VGPRBlocks: 20
; NumSGPRsForWavesPerEU: 36
; NumVGPRsForWavesPerEU: 81
; Occupancy: 3
; WaveLimiterHint : 1
; COMPUTE_PGM_RSRC2:SCRATCH_EN: 0
; COMPUTE_PGM_RSRC2:USER_SGPR: 6
; COMPUTE_PGM_RSRC2:TRAP_HANDLER: 0
; COMPUTE_PGM_RSRC2:TGID_X_EN: 1
; COMPUTE_PGM_RSRC2:TGID_Y_EN: 0
; COMPUTE_PGM_RSRC2:TGID_Z_EN: 0
; COMPUTE_PGM_RSRC2:TIDIG_COMP_CNT: 0
	.type	__hip_cuid_14aef92585532ef1,@object ; @__hip_cuid_14aef92585532ef1
	.section	.bss,"aw",@nobits
	.globl	__hip_cuid_14aef92585532ef1
__hip_cuid_14aef92585532ef1:
	.byte	0                               ; 0x0
	.size	__hip_cuid_14aef92585532ef1, 1

	.ident	"AMD clang version 19.0.0git (https://github.com/RadeonOpenCompute/llvm-project roc-6.4.0 25133 c7fe45cf4b819c5991fe208aaa96edf142730f1d)"
	.section	".note.GNU-stack","",@progbits
	.addrsig
	.addrsig_sym __hip_cuid_14aef92585532ef1
	.amdgpu_metadata
---
amdhsa.kernels:
  - .args:
      - .actual_access:  read_only
        .address_space:  global
        .offset:         0
        .size:           8
        .value_kind:     global_buffer
      - .offset:         8
        .size:           8
        .value_kind:     by_value
      - .actual_access:  read_only
        .address_space:  global
        .offset:         16
        .size:           8
        .value_kind:     global_buffer
      - .actual_access:  read_only
        .address_space:  global
        .offset:         24
        .size:           8
        .value_kind:     global_buffer
      - .actual_access:  read_only
        .address_space:  global
        .offset:         32
        .size:           8
        .value_kind:     global_buffer
      - .offset:         40
        .size:           8
        .value_kind:     by_value
      - .actual_access:  read_only
        .address_space:  global
        .offset:         48
        .size:           8
        .value_kind:     global_buffer
      - .actual_access:  read_only
        .address_space:  global
        .offset:         56
        .size:           8
        .value_kind:     global_buffer
      - .offset:         64
        .size:           4
        .value_kind:     by_value
      - .actual_access:  read_only
        .address_space:  global
        .offset:         72
        .size:           8
        .value_kind:     global_buffer
      - .actual_access:  read_only
        .address_space:  global
        .offset:         80
        .size:           8
        .value_kind:     global_buffer
      - .actual_access:  read_only
        .address_space:  global
        .offset:         88
        .size:           8
        .value_kind:     global_buffer
      - .actual_access:  write_only
        .address_space:  global
        .offset:         96
        .size:           8
        .value_kind:     global_buffer
    .group_segment_fixed_size: 0
    .kernarg_segment_align: 8
    .kernarg_segment_size: 104
    .language:       OpenCL C
    .language_version:
      - 2
      - 0
    .max_flat_workgroup_size: 225
    .name:           fft_rtc_back_len1200_factors_5_5_16_3_wgs_225_tpt_75_halfLds_sp_op_CI_CI_sbrr_dirReg
    .private_segment_fixed_size: 0
    .sgpr_count:     36
    .sgpr_spill_count: 0
    .symbol:         fft_rtc_back_len1200_factors_5_5_16_3_wgs_225_tpt_75_halfLds_sp_op_CI_CI_sbrr_dirReg.kd
    .uniform_work_group_size: 1
    .uses_dynamic_stack: false
    .vgpr_count:     81
    .vgpr_spill_count: 0
    .wavefront_size: 64
amdhsa.target:   amdgcn-amd-amdhsa--gfx906
amdhsa.version:
  - 1
  - 2
...

	.end_amdgpu_metadata
